;; amdgpu-corpus repo=ROCm/rocBLAS kind=compiled arch=gfx906 opt=O3
	.amdgcn_target "amdgcn-amd-amdhsa--gfx906"
	.amdhsa_code_object_version 6
	.section	.text._ZL40rocblas_copy_triangular_syrk_herk_kernelILb1ELb1ELb0EfPfLi16ELi16EEviT3_ilPT2_i,"axG",@progbits,_ZL40rocblas_copy_triangular_syrk_herk_kernelILb1ELb1ELb0EfPfLi16ELi16EEviT3_ilPT2_i,comdat
	.globl	_ZL40rocblas_copy_triangular_syrk_herk_kernelILb1ELb1ELb0EfPfLi16ELi16EEviT3_ilPT2_i ; -- Begin function _ZL40rocblas_copy_triangular_syrk_herk_kernelILb1ELb1ELb0EfPfLi16ELi16EEviT3_ilPT2_i
	.p2align	8
	.type	_ZL40rocblas_copy_triangular_syrk_herk_kernelILb1ELb1ELb0EfPfLi16ELi16EEviT3_ilPT2_i,@function
_ZL40rocblas_copy_triangular_syrk_herk_kernelILb1ELb1ELb0EfPfLi16ELi16EEviT3_ilPT2_i: ; @_ZL40rocblas_copy_triangular_syrk_herk_kernelILb1ELb1ELb0EfPfLi16ELi16EEviT3_ilPT2_i
; %bb.0:
	s_load_dword s0, s[4:5], 0x3c
	s_load_dword s2, s[4:5], 0x0
	s_waitcnt lgkmcnt(0)
	s_lshr_b32 s1, s0, 16
	s_and_b32 s0, s0, 0xffff
	s_mul_i32 s7, s7, s1
	s_mul_i32 s6, s6, s0
	v_add_u32_e32 v1, s7, v1
	v_add_u32_e32 v0, s6, v0
	v_max_i32_e32 v2, v1, v0
	v_cmp_gt_i32_e32 vcc, s2, v2
	v_cmp_gt_i32_e64 s[0:1], v1, v0
	s_and_b64 s[0:1], s[0:1], vcc
	s_and_saveexec_b64 s[6:7], s[0:1]
	s_cbranch_execz .LBB0_2
; %bb.1:
	s_add_i32 s3, s2, -1
	s_load_dwordx2 s[0:1], s[4:5], 0x8
	s_load_dword s6, s[4:5], 0x10
	s_load_dwordx4 s[12:15], s[4:5], 0x18
	s_mul_hi_i32 s4, s3, s2
	s_mul_i32 s3, s3, s2
	s_lshr_b32 s2, s4, 31
	s_add_u32 s2, s3, s2
	s_addc_u32 s3, s4, 0
	s_ashr_i64 s[2:3], s[2:3], 1
	s_mul_i32 s3, s3, s8
	s_mul_hi_u32 s4, s2, s8
	s_add_i32 s3, s4, s3
	s_mul_i32 s2, s2, s8
	s_lshl_b64 s[2:3], s[2:3], 2
	s_waitcnt lgkmcnt(0)
	s_add_u32 s7, s14, s2
	v_mad_i64_i32 v[3:4], s[4:5], v0, s6, 0
	s_addc_u32 s9, s15, s3
	s_mul_i32 s2, s13, s8
	s_mul_hi_u32 s3, s12, s8
	s_add_i32 s3, s3, s2
	s_mul_i32 s2, s12, s8
	s_lshl_b64 s[2:3], s[2:3], 2
	s_add_u32 s0, s0, s2
	v_lshlrev_b64 v[3:4], 2, v[3:4]
	s_addc_u32 s1, s1, s3
	v_ashrrev_i32_e32 v2, 31, v1
	v_mov_b32_e32 v5, s1
	v_add_co_u32_e32 v6, vcc, s0, v3
	v_lshlrev_b64 v[2:3], 2, v[1:2]
	v_addc_co_u32_e32 v4, vcc, v5, v4, vcc
	v_add_co_u32_e32 v2, vcc, v6, v2
	v_addc_co_u32_e32 v3, vcc, v4, v3, vcc
	global_load_dword v2, v[2:3], off
	v_add_u32_e32 v3, -1, v1
	v_mul_lo_u32 v1, v3, v1
	v_lshrrev_b32_e32 v3, 31, v1
	v_add_u32_e32 v1, v1, v3
	v_ashrrev_i32_e32 v1, 1, v1
	v_add_u32_e32 v0, v1, v0
	v_ashrrev_i32_e32 v1, 31, v0
	v_lshlrev_b64 v[0:1], 2, v[0:1]
	v_mov_b32_e32 v3, s9
	v_add_co_u32_e32 v0, vcc, s7, v0
	v_addc_co_u32_e32 v1, vcc, v3, v1, vcc
	s_waitcnt vmcnt(0)
	global_store_dword v[0:1], v2, off
.LBB0_2:
	s_endpgm
	.section	.rodata,"a",@progbits
	.p2align	6, 0x0
	.amdhsa_kernel _ZL40rocblas_copy_triangular_syrk_herk_kernelILb1ELb1ELb0EfPfLi16ELi16EEviT3_ilPT2_i
		.amdhsa_group_segment_fixed_size 0
		.amdhsa_private_segment_fixed_size 0
		.amdhsa_kernarg_size 304
		.amdhsa_user_sgpr_count 6
		.amdhsa_user_sgpr_private_segment_buffer 1
		.amdhsa_user_sgpr_dispatch_ptr 0
		.amdhsa_user_sgpr_queue_ptr 0
		.amdhsa_user_sgpr_kernarg_segment_ptr 1
		.amdhsa_user_sgpr_dispatch_id 0
		.amdhsa_user_sgpr_flat_scratch_init 0
		.amdhsa_user_sgpr_private_segment_size 0
		.amdhsa_uses_dynamic_stack 0
		.amdhsa_system_sgpr_private_segment_wavefront_offset 0
		.amdhsa_system_sgpr_workgroup_id_x 1
		.amdhsa_system_sgpr_workgroup_id_y 1
		.amdhsa_system_sgpr_workgroup_id_z 1
		.amdhsa_system_sgpr_workgroup_info 0
		.amdhsa_system_vgpr_workitem_id 1
		.amdhsa_next_free_vgpr 7
		.amdhsa_next_free_sgpr 16
		.amdhsa_reserve_vcc 1
		.amdhsa_reserve_flat_scratch 0
		.amdhsa_float_round_mode_32 0
		.amdhsa_float_round_mode_16_64 0
		.amdhsa_float_denorm_mode_32 3
		.amdhsa_float_denorm_mode_16_64 3
		.amdhsa_dx10_clamp 1
		.amdhsa_ieee_mode 1
		.amdhsa_fp16_overflow 0
		.amdhsa_exception_fp_ieee_invalid_op 0
		.amdhsa_exception_fp_denorm_src 0
		.amdhsa_exception_fp_ieee_div_zero 0
		.amdhsa_exception_fp_ieee_overflow 0
		.amdhsa_exception_fp_ieee_underflow 0
		.amdhsa_exception_fp_ieee_inexact 0
		.amdhsa_exception_int_div_zero 0
	.end_amdhsa_kernel
	.section	.text._ZL40rocblas_copy_triangular_syrk_herk_kernelILb1ELb1ELb0EfPfLi16ELi16EEviT3_ilPT2_i,"axG",@progbits,_ZL40rocblas_copy_triangular_syrk_herk_kernelILb1ELb1ELb0EfPfLi16ELi16EEviT3_ilPT2_i,comdat
.Lfunc_end0:
	.size	_ZL40rocblas_copy_triangular_syrk_herk_kernelILb1ELb1ELb0EfPfLi16ELi16EEviT3_ilPT2_i, .Lfunc_end0-_ZL40rocblas_copy_triangular_syrk_herk_kernelILb1ELb1ELb0EfPfLi16ELi16EEviT3_ilPT2_i
                                        ; -- End function
	.set _ZL40rocblas_copy_triangular_syrk_herk_kernelILb1ELb1ELb0EfPfLi16ELi16EEviT3_ilPT2_i.num_vgpr, 7
	.set _ZL40rocblas_copy_triangular_syrk_herk_kernelILb1ELb1ELb0EfPfLi16ELi16EEviT3_ilPT2_i.num_agpr, 0
	.set _ZL40rocblas_copy_triangular_syrk_herk_kernelILb1ELb1ELb0EfPfLi16ELi16EEviT3_ilPT2_i.numbered_sgpr, 16
	.set _ZL40rocblas_copy_triangular_syrk_herk_kernelILb1ELb1ELb0EfPfLi16ELi16EEviT3_ilPT2_i.num_named_barrier, 0
	.set _ZL40rocblas_copy_triangular_syrk_herk_kernelILb1ELb1ELb0EfPfLi16ELi16EEviT3_ilPT2_i.private_seg_size, 0
	.set _ZL40rocblas_copy_triangular_syrk_herk_kernelILb1ELb1ELb0EfPfLi16ELi16EEviT3_ilPT2_i.uses_vcc, 1
	.set _ZL40rocblas_copy_triangular_syrk_herk_kernelILb1ELb1ELb0EfPfLi16ELi16EEviT3_ilPT2_i.uses_flat_scratch, 0
	.set _ZL40rocblas_copy_triangular_syrk_herk_kernelILb1ELb1ELb0EfPfLi16ELi16EEviT3_ilPT2_i.has_dyn_sized_stack, 0
	.set _ZL40rocblas_copy_triangular_syrk_herk_kernelILb1ELb1ELb0EfPfLi16ELi16EEviT3_ilPT2_i.has_recursion, 0
	.set _ZL40rocblas_copy_triangular_syrk_herk_kernelILb1ELb1ELb0EfPfLi16ELi16EEviT3_ilPT2_i.has_indirect_call, 0
	.section	.AMDGPU.csdata,"",@progbits
; Kernel info:
; codeLenInByte = 312
; TotalNumSgprs: 20
; NumVgprs: 7
; ScratchSize: 0
; MemoryBound: 0
; FloatMode: 240
; IeeeMode: 1
; LDSByteSize: 0 bytes/workgroup (compile time only)
; SGPRBlocks: 2
; VGPRBlocks: 1
; NumSGPRsForWavesPerEU: 20
; NumVGPRsForWavesPerEU: 7
; Occupancy: 10
; WaveLimiterHint : 0
; COMPUTE_PGM_RSRC2:SCRATCH_EN: 0
; COMPUTE_PGM_RSRC2:USER_SGPR: 6
; COMPUTE_PGM_RSRC2:TRAP_HANDLER: 0
; COMPUTE_PGM_RSRC2:TGID_X_EN: 1
; COMPUTE_PGM_RSRC2:TGID_Y_EN: 1
; COMPUTE_PGM_RSRC2:TGID_Z_EN: 1
; COMPUTE_PGM_RSRC2:TIDIG_COMP_CNT: 1
	.section	.text._ZL40rocblas_copy_triangular_syrk_herk_kernelILb1ELb0ELb0EfPfLi16ELi16EEviT3_ilPT2_i,"axG",@progbits,_ZL40rocblas_copy_triangular_syrk_herk_kernelILb1ELb0ELb0EfPfLi16ELi16EEviT3_ilPT2_i,comdat
	.globl	_ZL40rocblas_copy_triangular_syrk_herk_kernelILb1ELb0ELb0EfPfLi16ELi16EEviT3_ilPT2_i ; -- Begin function _ZL40rocblas_copy_triangular_syrk_herk_kernelILb1ELb0ELb0EfPfLi16ELi16EEviT3_ilPT2_i
	.p2align	8
	.type	_ZL40rocblas_copy_triangular_syrk_herk_kernelILb1ELb0ELb0EfPfLi16ELi16EEviT3_ilPT2_i,@function
_ZL40rocblas_copy_triangular_syrk_herk_kernelILb1ELb0ELb0EfPfLi16ELi16EEviT3_ilPT2_i: ; @_ZL40rocblas_copy_triangular_syrk_herk_kernelILb1ELb0ELb0EfPfLi16ELi16EEviT3_ilPT2_i
; %bb.0:
	s_load_dword s0, s[4:5], 0x3c
	s_load_dword s2, s[4:5], 0x0
	s_waitcnt lgkmcnt(0)
	s_lshr_b32 s1, s0, 16
	s_and_b32 s0, s0, 0xffff
	s_mul_i32 s7, s7, s1
	s_mul_i32 s6, s6, s0
	v_add_u32_e32 v1, s7, v1
	v_add_u32_e32 v0, s6, v0
	v_max_i32_e32 v2, v1, v0
	v_cmp_gt_i32_e32 vcc, s2, v2
	v_cmp_lt_i32_e64 s[0:1], v1, v0
	s_and_b64 s[0:1], s[0:1], vcc
	s_and_saveexec_b64 s[6:7], s[0:1]
	s_cbranch_execz .LBB1_2
; %bb.1:
	s_load_dwordx2 s[0:1], s[4:5], 0x8
	s_load_dword s3, s[4:5], 0x10
	s_load_dwordx4 s[12:15], s[4:5], 0x18
	s_add_i32 s4, s2, -1
	s_mul_hi_i32 s5, s4, s2
	s_mul_i32 s4, s4, s2
	s_lshr_b32 s6, s5, 31
	s_add_u32 s4, s4, s6
	s_addc_u32 s5, s5, 0
	s_ashr_i64 s[4:5], s[4:5], 1
	s_mul_i32 s5, s5, s8
	s_mul_hi_u32 s6, s4, s8
	s_add_i32 s5, s6, s5
	s_mul_i32 s4, s4, s8
	s_lshl_b64 s[4:5], s[4:5], 2
	s_waitcnt lgkmcnt(0)
	s_add_u32 s9, s14, s4
	v_mad_i64_i32 v[3:4], s[6:7], v0, s3, 0
	s_addc_u32 s10, s15, s5
	s_mul_i32 s4, s13, s8
	s_mul_hi_u32 s5, s12, s8
	s_add_i32 s5, s5, s4
	s_mul_i32 s4, s12, s8
	s_lshl_b64 s[4:5], s[4:5], 2
	s_add_u32 s0, s0, s4
	v_lshlrev_b64 v[3:4], 2, v[3:4]
	s_addc_u32 s1, s1, s5
	v_ashrrev_i32_e32 v2, 31, v1
	v_mov_b32_e32 v5, s1
	v_add_co_u32_e32 v6, vcc, s0, v3
	v_lshlrev_b64 v[2:3], 2, v[1:2]
	v_addc_co_u32_e32 v4, vcc, v5, v4, vcc
	v_add_co_u32_e32 v2, vcc, v6, v2
	v_addc_co_u32_e32 v3, vcc, v4, v3, vcc
	global_load_dword v2, v[2:3], off
	v_not_b32_e32 v3, v1
	v_lshl_add_u32 v4, s2, 1, v3
	v_mul_lo_u32 v1, v4, v1
	v_lshrrev_b32_e32 v4, 31, v1
	v_add_u32_e32 v1, v1, v4
	v_ashrrev_i32_e32 v1, 1, v1
	v_add3_u32 v0, v0, v3, v1
	v_ashrrev_i32_e32 v1, 31, v0
	v_lshlrev_b64 v[0:1], 2, v[0:1]
	v_mov_b32_e32 v3, s10
	v_add_co_u32_e32 v0, vcc, s9, v0
	v_addc_co_u32_e32 v1, vcc, v3, v1, vcc
	s_waitcnt vmcnt(0)
	global_store_dword v[0:1], v2, off
.LBB1_2:
	s_endpgm
	.section	.rodata,"a",@progbits
	.p2align	6, 0x0
	.amdhsa_kernel _ZL40rocblas_copy_triangular_syrk_herk_kernelILb1ELb0ELb0EfPfLi16ELi16EEviT3_ilPT2_i
		.amdhsa_group_segment_fixed_size 0
		.amdhsa_private_segment_fixed_size 0
		.amdhsa_kernarg_size 304
		.amdhsa_user_sgpr_count 6
		.amdhsa_user_sgpr_private_segment_buffer 1
		.amdhsa_user_sgpr_dispatch_ptr 0
		.amdhsa_user_sgpr_queue_ptr 0
		.amdhsa_user_sgpr_kernarg_segment_ptr 1
		.amdhsa_user_sgpr_dispatch_id 0
		.amdhsa_user_sgpr_flat_scratch_init 0
		.amdhsa_user_sgpr_private_segment_size 0
		.amdhsa_uses_dynamic_stack 0
		.amdhsa_system_sgpr_private_segment_wavefront_offset 0
		.amdhsa_system_sgpr_workgroup_id_x 1
		.amdhsa_system_sgpr_workgroup_id_y 1
		.amdhsa_system_sgpr_workgroup_id_z 1
		.amdhsa_system_sgpr_workgroup_info 0
		.amdhsa_system_vgpr_workitem_id 1
		.amdhsa_next_free_vgpr 7
		.amdhsa_next_free_sgpr 16
		.amdhsa_reserve_vcc 1
		.amdhsa_reserve_flat_scratch 0
		.amdhsa_float_round_mode_32 0
		.amdhsa_float_round_mode_16_64 0
		.amdhsa_float_denorm_mode_32 3
		.amdhsa_float_denorm_mode_16_64 3
		.amdhsa_dx10_clamp 1
		.amdhsa_ieee_mode 1
		.amdhsa_fp16_overflow 0
		.amdhsa_exception_fp_ieee_invalid_op 0
		.amdhsa_exception_fp_denorm_src 0
		.amdhsa_exception_fp_ieee_div_zero 0
		.amdhsa_exception_fp_ieee_overflow 0
		.amdhsa_exception_fp_ieee_underflow 0
		.amdhsa_exception_fp_ieee_inexact 0
		.amdhsa_exception_int_div_zero 0
	.end_amdhsa_kernel
	.section	.text._ZL40rocblas_copy_triangular_syrk_herk_kernelILb1ELb0ELb0EfPfLi16ELi16EEviT3_ilPT2_i,"axG",@progbits,_ZL40rocblas_copy_triangular_syrk_herk_kernelILb1ELb0ELb0EfPfLi16ELi16EEviT3_ilPT2_i,comdat
.Lfunc_end1:
	.size	_ZL40rocblas_copy_triangular_syrk_herk_kernelILb1ELb0ELb0EfPfLi16ELi16EEviT3_ilPT2_i, .Lfunc_end1-_ZL40rocblas_copy_triangular_syrk_herk_kernelILb1ELb0ELb0EfPfLi16ELi16EEviT3_ilPT2_i
                                        ; -- End function
	.set _ZL40rocblas_copy_triangular_syrk_herk_kernelILb1ELb0ELb0EfPfLi16ELi16EEviT3_ilPT2_i.num_vgpr, 7
	.set _ZL40rocblas_copy_triangular_syrk_herk_kernelILb1ELb0ELb0EfPfLi16ELi16EEviT3_ilPT2_i.num_agpr, 0
	.set _ZL40rocblas_copy_triangular_syrk_herk_kernelILb1ELb0ELb0EfPfLi16ELi16EEviT3_ilPT2_i.numbered_sgpr, 16
	.set _ZL40rocblas_copy_triangular_syrk_herk_kernelILb1ELb0ELb0EfPfLi16ELi16EEviT3_ilPT2_i.num_named_barrier, 0
	.set _ZL40rocblas_copy_triangular_syrk_herk_kernelILb1ELb0ELb0EfPfLi16ELi16EEviT3_ilPT2_i.private_seg_size, 0
	.set _ZL40rocblas_copy_triangular_syrk_herk_kernelILb1ELb0ELb0EfPfLi16ELi16EEviT3_ilPT2_i.uses_vcc, 1
	.set _ZL40rocblas_copy_triangular_syrk_herk_kernelILb1ELb0ELb0EfPfLi16ELi16EEviT3_ilPT2_i.uses_flat_scratch, 0
	.set _ZL40rocblas_copy_triangular_syrk_herk_kernelILb1ELb0ELb0EfPfLi16ELi16EEviT3_ilPT2_i.has_dyn_sized_stack, 0
	.set _ZL40rocblas_copy_triangular_syrk_herk_kernelILb1ELb0ELb0EfPfLi16ELi16EEviT3_ilPT2_i.has_recursion, 0
	.set _ZL40rocblas_copy_triangular_syrk_herk_kernelILb1ELb0ELb0EfPfLi16ELi16EEviT3_ilPT2_i.has_indirect_call, 0
	.section	.AMDGPU.csdata,"",@progbits
; Kernel info:
; codeLenInByte = 324
; TotalNumSgprs: 20
; NumVgprs: 7
; ScratchSize: 0
; MemoryBound: 0
; FloatMode: 240
; IeeeMode: 1
; LDSByteSize: 0 bytes/workgroup (compile time only)
; SGPRBlocks: 2
; VGPRBlocks: 1
; NumSGPRsForWavesPerEU: 20
; NumVGPRsForWavesPerEU: 7
; Occupancy: 10
; WaveLimiterHint : 0
; COMPUTE_PGM_RSRC2:SCRATCH_EN: 0
; COMPUTE_PGM_RSRC2:USER_SGPR: 6
; COMPUTE_PGM_RSRC2:TRAP_HANDLER: 0
; COMPUTE_PGM_RSRC2:TGID_X_EN: 1
; COMPUTE_PGM_RSRC2:TGID_Y_EN: 1
; COMPUTE_PGM_RSRC2:TGID_Z_EN: 1
; COMPUTE_PGM_RSRC2:TIDIG_COMP_CNT: 1
	.section	.text._ZL40rocblas_copy_triangular_syrk_herk_kernelILb0ELb1ELb0EfPfLi16ELi16EEviT3_ilPT2_i,"axG",@progbits,_ZL40rocblas_copy_triangular_syrk_herk_kernelILb0ELb1ELb0EfPfLi16ELi16EEviT3_ilPT2_i,comdat
	.globl	_ZL40rocblas_copy_triangular_syrk_herk_kernelILb0ELb1ELb0EfPfLi16ELi16EEviT3_ilPT2_i ; -- Begin function _ZL40rocblas_copy_triangular_syrk_herk_kernelILb0ELb1ELb0EfPfLi16ELi16EEviT3_ilPT2_i
	.p2align	8
	.type	_ZL40rocblas_copy_triangular_syrk_herk_kernelILb0ELb1ELb0EfPfLi16ELi16EEviT3_ilPT2_i,@function
_ZL40rocblas_copy_triangular_syrk_herk_kernelILb0ELb1ELb0EfPfLi16ELi16EEviT3_ilPT2_i: ; @_ZL40rocblas_copy_triangular_syrk_herk_kernelILb0ELb1ELb0EfPfLi16ELi16EEviT3_ilPT2_i
; %bb.0:
	s_load_dword s0, s[4:5], 0x3c
	s_load_dword s9, s[4:5], 0x0
	s_waitcnt lgkmcnt(0)
	s_lshr_b32 s1, s0, 16
	s_and_b32 s0, s0, 0xffff
	s_mul_i32 s7, s7, s1
	s_mul_i32 s6, s6, s0
	v_add_u32_e32 v1, s7, v1
	v_add_u32_e32 v0, s6, v0
	v_max_i32_e32 v2, v1, v0
	v_cmp_gt_i32_e32 vcc, s9, v2
	v_cmp_gt_i32_e64 s[0:1], v1, v0
	s_and_b64 s[0:1], s[0:1], vcc
	s_and_saveexec_b64 s[2:3], s[0:1]
	s_cbranch_execz .LBB2_2
; %bb.1:
	v_add_u32_e32 v2, -1, v1
	s_add_i32 s6, s9, -1
	v_mul_lo_u32 v2, v2, v1
	s_mul_hi_i32 s7, s6, s9
	s_mul_i32 s6, s6, s9
	s_lshr_b32 s9, s7, 31
	s_add_u32 s6, s6, s9
	s_load_dwordx4 s[0:3], s[4:5], 0x18
	s_addc_u32 s7, s7, 0
	v_lshrrev_b32_e32 v3, 31, v2
	s_ashr_i64 s[6:7], s[6:7], 1
	v_add_u32_e32 v2, v2, v3
	s_mul_i32 s7, s7, s8
	s_mul_hi_u32 s9, s6, s8
	v_ashrrev_i32_e32 v2, 1, v2
	s_add_i32 s7, s9, s7
	s_mul_i32 s6, s6, s8
	v_add_u32_e32 v2, v2, v0
	s_lshl_b64 s[6:7], s[6:7], 2
	v_ashrrev_i32_e32 v3, 31, v2
	s_waitcnt lgkmcnt(0)
	s_add_u32 s2, s2, s6
	v_lshlrev_b64 v[2:3], 2, v[2:3]
	s_addc_u32 s3, s3, s7
	v_mov_b32_e32 v4, s3
	v_add_co_u32_e32 v2, vcc, s2, v2
	v_addc_co_u32_e32 v3, vcc, v4, v3, vcc
	global_load_dword v5, v[2:3], off
	s_load_dwordx2 s[2:3], s[4:5], 0x8
	s_load_dword s6, s[4:5], 0x10
	s_mul_i32 s1, s1, s8
	s_mul_hi_u32 s4, s0, s8
	s_add_i32 s1, s4, s1
	s_mul_i32 s0, s0, s8
	s_waitcnt lgkmcnt(0)
	v_mad_i64_i32 v[3:4], s[4:5], v0, s6, 0
	s_lshl_b64 s[0:1], s[0:1], 2
	s_add_u32 s0, s2, s0
	v_lshlrev_b64 v[3:4], 2, v[3:4]
	s_addc_u32 s1, s3, s1
	v_ashrrev_i32_e32 v2, 31, v1
	v_mov_b32_e32 v0, s1
	v_add_co_u32_e32 v3, vcc, s0, v3
	v_addc_co_u32_e32 v4, vcc, v0, v4, vcc
	v_lshlrev_b64 v[0:1], 2, v[1:2]
	v_add_co_u32_e32 v0, vcc, v3, v0
	v_addc_co_u32_e32 v1, vcc, v4, v1, vcc
	s_waitcnt vmcnt(0)
	global_store_dword v[0:1], v5, off
.LBB2_2:
	s_endpgm
	.section	.rodata,"a",@progbits
	.p2align	6, 0x0
	.amdhsa_kernel _ZL40rocblas_copy_triangular_syrk_herk_kernelILb0ELb1ELb0EfPfLi16ELi16EEviT3_ilPT2_i
		.amdhsa_group_segment_fixed_size 0
		.amdhsa_private_segment_fixed_size 0
		.amdhsa_kernarg_size 304
		.amdhsa_user_sgpr_count 6
		.amdhsa_user_sgpr_private_segment_buffer 1
		.amdhsa_user_sgpr_dispatch_ptr 0
		.amdhsa_user_sgpr_queue_ptr 0
		.amdhsa_user_sgpr_kernarg_segment_ptr 1
		.amdhsa_user_sgpr_dispatch_id 0
		.amdhsa_user_sgpr_flat_scratch_init 0
		.amdhsa_user_sgpr_private_segment_size 0
		.amdhsa_uses_dynamic_stack 0
		.amdhsa_system_sgpr_private_segment_wavefront_offset 0
		.amdhsa_system_sgpr_workgroup_id_x 1
		.amdhsa_system_sgpr_workgroup_id_y 1
		.amdhsa_system_sgpr_workgroup_id_z 1
		.amdhsa_system_sgpr_workgroup_info 0
		.amdhsa_system_vgpr_workitem_id 1
		.amdhsa_next_free_vgpr 6
		.amdhsa_next_free_sgpr 10
		.amdhsa_reserve_vcc 1
		.amdhsa_reserve_flat_scratch 0
		.amdhsa_float_round_mode_32 0
		.amdhsa_float_round_mode_16_64 0
		.amdhsa_float_denorm_mode_32 3
		.amdhsa_float_denorm_mode_16_64 3
		.amdhsa_dx10_clamp 1
		.amdhsa_ieee_mode 1
		.amdhsa_fp16_overflow 0
		.amdhsa_exception_fp_ieee_invalid_op 0
		.amdhsa_exception_fp_denorm_src 0
		.amdhsa_exception_fp_ieee_div_zero 0
		.amdhsa_exception_fp_ieee_overflow 0
		.amdhsa_exception_fp_ieee_underflow 0
		.amdhsa_exception_fp_ieee_inexact 0
		.amdhsa_exception_int_div_zero 0
	.end_amdhsa_kernel
	.section	.text._ZL40rocblas_copy_triangular_syrk_herk_kernelILb0ELb1ELb0EfPfLi16ELi16EEviT3_ilPT2_i,"axG",@progbits,_ZL40rocblas_copy_triangular_syrk_herk_kernelILb0ELb1ELb0EfPfLi16ELi16EEviT3_ilPT2_i,comdat
.Lfunc_end2:
	.size	_ZL40rocblas_copy_triangular_syrk_herk_kernelILb0ELb1ELb0EfPfLi16ELi16EEviT3_ilPT2_i, .Lfunc_end2-_ZL40rocblas_copy_triangular_syrk_herk_kernelILb0ELb1ELb0EfPfLi16ELi16EEviT3_ilPT2_i
                                        ; -- End function
	.set _ZL40rocblas_copy_triangular_syrk_herk_kernelILb0ELb1ELb0EfPfLi16ELi16EEviT3_ilPT2_i.num_vgpr, 6
	.set _ZL40rocblas_copy_triangular_syrk_herk_kernelILb0ELb1ELb0EfPfLi16ELi16EEviT3_ilPT2_i.num_agpr, 0
	.set _ZL40rocblas_copy_triangular_syrk_herk_kernelILb0ELb1ELb0EfPfLi16ELi16EEviT3_ilPT2_i.numbered_sgpr, 10
	.set _ZL40rocblas_copy_triangular_syrk_herk_kernelILb0ELb1ELb0EfPfLi16ELi16EEviT3_ilPT2_i.num_named_barrier, 0
	.set _ZL40rocblas_copy_triangular_syrk_herk_kernelILb0ELb1ELb0EfPfLi16ELi16EEviT3_ilPT2_i.private_seg_size, 0
	.set _ZL40rocblas_copy_triangular_syrk_herk_kernelILb0ELb1ELb0EfPfLi16ELi16EEviT3_ilPT2_i.uses_vcc, 1
	.set _ZL40rocblas_copy_triangular_syrk_herk_kernelILb0ELb1ELb0EfPfLi16ELi16EEviT3_ilPT2_i.uses_flat_scratch, 0
	.set _ZL40rocblas_copy_triangular_syrk_herk_kernelILb0ELb1ELb0EfPfLi16ELi16EEviT3_ilPT2_i.has_dyn_sized_stack, 0
	.set _ZL40rocblas_copy_triangular_syrk_herk_kernelILb0ELb1ELb0EfPfLi16ELi16EEviT3_ilPT2_i.has_recursion, 0
	.set _ZL40rocblas_copy_triangular_syrk_herk_kernelILb0ELb1ELb0EfPfLi16ELi16EEviT3_ilPT2_i.has_indirect_call, 0
	.section	.AMDGPU.csdata,"",@progbits
; Kernel info:
; codeLenInByte = 316
; TotalNumSgprs: 14
; NumVgprs: 6
; ScratchSize: 0
; MemoryBound: 0
; FloatMode: 240
; IeeeMode: 1
; LDSByteSize: 0 bytes/workgroup (compile time only)
; SGPRBlocks: 1
; VGPRBlocks: 1
; NumSGPRsForWavesPerEU: 14
; NumVGPRsForWavesPerEU: 6
; Occupancy: 10
; WaveLimiterHint : 0
; COMPUTE_PGM_RSRC2:SCRATCH_EN: 0
; COMPUTE_PGM_RSRC2:USER_SGPR: 6
; COMPUTE_PGM_RSRC2:TRAP_HANDLER: 0
; COMPUTE_PGM_RSRC2:TGID_X_EN: 1
; COMPUTE_PGM_RSRC2:TGID_Y_EN: 1
; COMPUTE_PGM_RSRC2:TGID_Z_EN: 1
; COMPUTE_PGM_RSRC2:TIDIG_COMP_CNT: 1
	.section	.text._ZL40rocblas_copy_triangular_syrk_herk_kernelILb0ELb0ELb0EfPfLi16ELi16EEviT3_ilPT2_i,"axG",@progbits,_ZL40rocblas_copy_triangular_syrk_herk_kernelILb0ELb0ELb0EfPfLi16ELi16EEviT3_ilPT2_i,comdat
	.globl	_ZL40rocblas_copy_triangular_syrk_herk_kernelILb0ELb0ELb0EfPfLi16ELi16EEviT3_ilPT2_i ; -- Begin function _ZL40rocblas_copy_triangular_syrk_herk_kernelILb0ELb0ELb0EfPfLi16ELi16EEviT3_ilPT2_i
	.p2align	8
	.type	_ZL40rocblas_copy_triangular_syrk_herk_kernelILb0ELb0ELb0EfPfLi16ELi16EEviT3_ilPT2_i,@function
_ZL40rocblas_copy_triangular_syrk_herk_kernelILb0ELb0ELb0EfPfLi16ELi16EEviT3_ilPT2_i: ; @_ZL40rocblas_copy_triangular_syrk_herk_kernelILb0ELb0ELb0EfPfLi16ELi16EEviT3_ilPT2_i
; %bb.0:
	s_load_dword s0, s[4:5], 0x3c
	s_load_dword s9, s[4:5], 0x0
	s_waitcnt lgkmcnt(0)
	s_lshr_b32 s1, s0, 16
	s_and_b32 s0, s0, 0xffff
	s_mul_i32 s7, s7, s1
	s_mul_i32 s6, s6, s0
	v_add_u32_e32 v1, s7, v1
	v_add_u32_e32 v0, s6, v0
	v_max_i32_e32 v2, v1, v0
	v_cmp_gt_i32_e32 vcc, s9, v2
	v_cmp_lt_i32_e64 s[0:1], v1, v0
	s_and_b64 s[0:1], s[0:1], vcc
	s_and_saveexec_b64 s[2:3], s[0:1]
	s_cbranch_execz .LBB3_2
; %bb.1:
	v_not_b32_e32 v2, v1
	v_lshl_add_u32 v3, s9, 1, v2
	s_add_i32 s6, s9, -1
	v_mul_lo_u32 v3, v3, v1
	s_mul_hi_i32 s7, s6, s9
	s_mul_i32 s6, s6, s9
	s_lshr_b32 s10, s7, 31
	s_add_u32 s6, s6, s10
	s_load_dwordx4 s[0:3], s[4:5], 0x18
	s_addc_u32 s7, s7, 0
	v_lshrrev_b32_e32 v4, 31, v3
	s_ashr_i64 s[6:7], s[6:7], 1
	v_add_u32_e32 v3, v3, v4
	s_mul_i32 s7, s7, s8
	s_mul_hi_u32 s10, s6, s8
	v_ashrrev_i32_e32 v3, 1, v3
	s_add_i32 s7, s10, s7
	s_mul_i32 s6, s6, s8
	v_add3_u32 v2, v0, v2, v3
	s_lshl_b64 s[6:7], s[6:7], 2
	v_ashrrev_i32_e32 v3, 31, v2
	s_waitcnt lgkmcnt(0)
	s_add_u32 s2, s2, s6
	v_lshlrev_b64 v[2:3], 2, v[2:3]
	s_addc_u32 s3, s3, s7
	v_mov_b32_e32 v4, s3
	v_add_co_u32_e32 v2, vcc, s2, v2
	v_addc_co_u32_e32 v3, vcc, v4, v3, vcc
	global_load_dword v5, v[2:3], off
	s_load_dwordx2 s[2:3], s[4:5], 0x8
	s_load_dword s6, s[4:5], 0x10
	s_mul_i32 s1, s1, s8
	s_mul_hi_u32 s4, s0, s8
	s_add_i32 s1, s4, s1
	s_mul_i32 s0, s0, s8
	s_waitcnt lgkmcnt(0)
	v_mad_i64_i32 v[3:4], s[4:5], v0, s6, 0
	s_lshl_b64 s[0:1], s[0:1], 2
	s_add_u32 s0, s2, s0
	v_lshlrev_b64 v[3:4], 2, v[3:4]
	s_addc_u32 s1, s3, s1
	v_ashrrev_i32_e32 v2, 31, v1
	v_mov_b32_e32 v0, s1
	v_add_co_u32_e32 v3, vcc, s0, v3
	v_addc_co_u32_e32 v4, vcc, v0, v4, vcc
	v_lshlrev_b64 v[0:1], 2, v[1:2]
	v_add_co_u32_e32 v0, vcc, v3, v0
	v_addc_co_u32_e32 v1, vcc, v4, v1, vcc
	s_waitcnt vmcnt(0)
	global_store_dword v[0:1], v5, off
.LBB3_2:
	s_endpgm
	.section	.rodata,"a",@progbits
	.p2align	6, 0x0
	.amdhsa_kernel _ZL40rocblas_copy_triangular_syrk_herk_kernelILb0ELb0ELb0EfPfLi16ELi16EEviT3_ilPT2_i
		.amdhsa_group_segment_fixed_size 0
		.amdhsa_private_segment_fixed_size 0
		.amdhsa_kernarg_size 304
		.amdhsa_user_sgpr_count 6
		.amdhsa_user_sgpr_private_segment_buffer 1
		.amdhsa_user_sgpr_dispatch_ptr 0
		.amdhsa_user_sgpr_queue_ptr 0
		.amdhsa_user_sgpr_kernarg_segment_ptr 1
		.amdhsa_user_sgpr_dispatch_id 0
		.amdhsa_user_sgpr_flat_scratch_init 0
		.amdhsa_user_sgpr_private_segment_size 0
		.amdhsa_uses_dynamic_stack 0
		.amdhsa_system_sgpr_private_segment_wavefront_offset 0
		.amdhsa_system_sgpr_workgroup_id_x 1
		.amdhsa_system_sgpr_workgroup_id_y 1
		.amdhsa_system_sgpr_workgroup_id_z 1
		.amdhsa_system_sgpr_workgroup_info 0
		.amdhsa_system_vgpr_workitem_id 1
		.amdhsa_next_free_vgpr 6
		.amdhsa_next_free_sgpr 11
		.amdhsa_reserve_vcc 1
		.amdhsa_reserve_flat_scratch 0
		.amdhsa_float_round_mode_32 0
		.amdhsa_float_round_mode_16_64 0
		.amdhsa_float_denorm_mode_32 3
		.amdhsa_float_denorm_mode_16_64 3
		.amdhsa_dx10_clamp 1
		.amdhsa_ieee_mode 1
		.amdhsa_fp16_overflow 0
		.amdhsa_exception_fp_ieee_invalid_op 0
		.amdhsa_exception_fp_denorm_src 0
		.amdhsa_exception_fp_ieee_div_zero 0
		.amdhsa_exception_fp_ieee_overflow 0
		.amdhsa_exception_fp_ieee_underflow 0
		.amdhsa_exception_fp_ieee_inexact 0
		.amdhsa_exception_int_div_zero 0
	.end_amdhsa_kernel
	.section	.text._ZL40rocblas_copy_triangular_syrk_herk_kernelILb0ELb0ELb0EfPfLi16ELi16EEviT3_ilPT2_i,"axG",@progbits,_ZL40rocblas_copy_triangular_syrk_herk_kernelILb0ELb0ELb0EfPfLi16ELi16EEviT3_ilPT2_i,comdat
.Lfunc_end3:
	.size	_ZL40rocblas_copy_triangular_syrk_herk_kernelILb0ELb0ELb0EfPfLi16ELi16EEviT3_ilPT2_i, .Lfunc_end3-_ZL40rocblas_copy_triangular_syrk_herk_kernelILb0ELb0ELb0EfPfLi16ELi16EEviT3_ilPT2_i
                                        ; -- End function
	.set _ZL40rocblas_copy_triangular_syrk_herk_kernelILb0ELb0ELb0EfPfLi16ELi16EEviT3_ilPT2_i.num_vgpr, 6
	.set _ZL40rocblas_copy_triangular_syrk_herk_kernelILb0ELb0ELb0EfPfLi16ELi16EEviT3_ilPT2_i.num_agpr, 0
	.set _ZL40rocblas_copy_triangular_syrk_herk_kernelILb0ELb0ELb0EfPfLi16ELi16EEviT3_ilPT2_i.numbered_sgpr, 11
	.set _ZL40rocblas_copy_triangular_syrk_herk_kernelILb0ELb0ELb0EfPfLi16ELi16EEviT3_ilPT2_i.num_named_barrier, 0
	.set _ZL40rocblas_copy_triangular_syrk_herk_kernelILb0ELb0ELb0EfPfLi16ELi16EEviT3_ilPT2_i.private_seg_size, 0
	.set _ZL40rocblas_copy_triangular_syrk_herk_kernelILb0ELb0ELb0EfPfLi16ELi16EEviT3_ilPT2_i.uses_vcc, 1
	.set _ZL40rocblas_copy_triangular_syrk_herk_kernelILb0ELb0ELb0EfPfLi16ELi16EEviT3_ilPT2_i.uses_flat_scratch, 0
	.set _ZL40rocblas_copy_triangular_syrk_herk_kernelILb0ELb0ELb0EfPfLi16ELi16EEviT3_ilPT2_i.has_dyn_sized_stack, 0
	.set _ZL40rocblas_copy_triangular_syrk_herk_kernelILb0ELb0ELb0EfPfLi16ELi16EEviT3_ilPT2_i.has_recursion, 0
	.set _ZL40rocblas_copy_triangular_syrk_herk_kernelILb0ELb0ELb0EfPfLi16ELi16EEviT3_ilPT2_i.has_indirect_call, 0
	.section	.AMDGPU.csdata,"",@progbits
; Kernel info:
; codeLenInByte = 328
; TotalNumSgprs: 15
; NumVgprs: 6
; ScratchSize: 0
; MemoryBound: 0
; FloatMode: 240
; IeeeMode: 1
; LDSByteSize: 0 bytes/workgroup (compile time only)
; SGPRBlocks: 1
; VGPRBlocks: 1
; NumSGPRsForWavesPerEU: 15
; NumVGPRsForWavesPerEU: 6
; Occupancy: 10
; WaveLimiterHint : 0
; COMPUTE_PGM_RSRC2:SCRATCH_EN: 0
; COMPUTE_PGM_RSRC2:USER_SGPR: 6
; COMPUTE_PGM_RSRC2:TRAP_HANDLER: 0
; COMPUTE_PGM_RSRC2:TGID_X_EN: 1
; COMPUTE_PGM_RSRC2:TGID_Y_EN: 1
; COMPUTE_PGM_RSRC2:TGID_Z_EN: 1
; COMPUTE_PGM_RSRC2:TIDIG_COMP_CNT: 1
	.section	.text._ZL40rocblas_copy_triangular_syrk_herk_kernelILb1ELb1ELb0EdPdLi16ELi16EEviT3_ilPT2_i,"axG",@progbits,_ZL40rocblas_copy_triangular_syrk_herk_kernelILb1ELb1ELb0EdPdLi16ELi16EEviT3_ilPT2_i,comdat
	.globl	_ZL40rocblas_copy_triangular_syrk_herk_kernelILb1ELb1ELb0EdPdLi16ELi16EEviT3_ilPT2_i ; -- Begin function _ZL40rocblas_copy_triangular_syrk_herk_kernelILb1ELb1ELb0EdPdLi16ELi16EEviT3_ilPT2_i
	.p2align	8
	.type	_ZL40rocblas_copy_triangular_syrk_herk_kernelILb1ELb1ELb0EdPdLi16ELi16EEviT3_ilPT2_i,@function
_ZL40rocblas_copy_triangular_syrk_herk_kernelILb1ELb1ELb0EdPdLi16ELi16EEviT3_ilPT2_i: ; @_ZL40rocblas_copy_triangular_syrk_herk_kernelILb1ELb1ELb0EdPdLi16ELi16EEviT3_ilPT2_i
; %bb.0:
	s_load_dword s0, s[4:5], 0x3c
	s_load_dword s2, s[4:5], 0x0
	s_waitcnt lgkmcnt(0)
	s_lshr_b32 s1, s0, 16
	s_and_b32 s0, s0, 0xffff
	s_mul_i32 s7, s7, s1
	s_mul_i32 s6, s6, s0
	v_add_u32_e32 v1, s7, v1
	v_add_u32_e32 v0, s6, v0
	v_max_i32_e32 v2, v1, v0
	v_cmp_gt_i32_e32 vcc, s2, v2
	v_cmp_gt_i32_e64 s[0:1], v1, v0
	s_and_b64 s[0:1], s[0:1], vcc
	s_and_saveexec_b64 s[6:7], s[0:1]
	s_cbranch_execz .LBB4_2
; %bb.1:
	s_add_i32 s3, s2, -1
	s_load_dwordx2 s[0:1], s[4:5], 0x8
	s_load_dword s6, s[4:5], 0x10
	s_load_dwordx4 s[12:15], s[4:5], 0x18
	s_mul_hi_i32 s4, s3, s2
	s_mul_i32 s3, s3, s2
	s_lshr_b32 s2, s4, 31
	s_add_u32 s2, s3, s2
	s_addc_u32 s3, s4, 0
	s_ashr_i64 s[2:3], s[2:3], 1
	s_mul_i32 s3, s3, s8
	s_mul_hi_u32 s4, s2, s8
	s_add_i32 s3, s4, s3
	s_mul_i32 s2, s2, s8
	s_lshl_b64 s[2:3], s[2:3], 3
	s_waitcnt lgkmcnt(0)
	s_add_u32 s7, s14, s2
	v_mad_i64_i32 v[3:4], s[4:5], v0, s6, 0
	s_addc_u32 s9, s15, s3
	s_mul_i32 s2, s13, s8
	s_mul_hi_u32 s3, s12, s8
	s_add_i32 s3, s3, s2
	s_mul_i32 s2, s12, s8
	s_lshl_b64 s[2:3], s[2:3], 3
	s_add_u32 s0, s0, s2
	v_lshlrev_b64 v[3:4], 3, v[3:4]
	s_addc_u32 s1, s1, s3
	v_ashrrev_i32_e32 v2, 31, v1
	v_mov_b32_e32 v5, s1
	v_add_co_u32_e32 v6, vcc, s0, v3
	v_lshlrev_b64 v[2:3], 3, v[1:2]
	v_addc_co_u32_e32 v4, vcc, v5, v4, vcc
	v_add_co_u32_e32 v2, vcc, v6, v2
	v_addc_co_u32_e32 v3, vcc, v4, v3, vcc
	global_load_dwordx2 v[2:3], v[2:3], off
	v_add_u32_e32 v4, -1, v1
	v_mul_lo_u32 v1, v4, v1
	v_lshrrev_b32_e32 v4, 31, v1
	v_add_u32_e32 v1, v1, v4
	v_ashrrev_i32_e32 v1, 1, v1
	v_add_u32_e32 v0, v1, v0
	v_ashrrev_i32_e32 v1, 31, v0
	v_lshlrev_b64 v[0:1], 3, v[0:1]
	v_mov_b32_e32 v4, s9
	v_add_co_u32_e32 v0, vcc, s7, v0
	v_addc_co_u32_e32 v1, vcc, v4, v1, vcc
	s_waitcnt vmcnt(0)
	global_store_dwordx2 v[0:1], v[2:3], off
.LBB4_2:
	s_endpgm
	.section	.rodata,"a",@progbits
	.p2align	6, 0x0
	.amdhsa_kernel _ZL40rocblas_copy_triangular_syrk_herk_kernelILb1ELb1ELb0EdPdLi16ELi16EEviT3_ilPT2_i
		.amdhsa_group_segment_fixed_size 0
		.amdhsa_private_segment_fixed_size 0
		.amdhsa_kernarg_size 304
		.amdhsa_user_sgpr_count 6
		.amdhsa_user_sgpr_private_segment_buffer 1
		.amdhsa_user_sgpr_dispatch_ptr 0
		.amdhsa_user_sgpr_queue_ptr 0
		.amdhsa_user_sgpr_kernarg_segment_ptr 1
		.amdhsa_user_sgpr_dispatch_id 0
		.amdhsa_user_sgpr_flat_scratch_init 0
		.amdhsa_user_sgpr_private_segment_size 0
		.amdhsa_uses_dynamic_stack 0
		.amdhsa_system_sgpr_private_segment_wavefront_offset 0
		.amdhsa_system_sgpr_workgroup_id_x 1
		.amdhsa_system_sgpr_workgroup_id_y 1
		.amdhsa_system_sgpr_workgroup_id_z 1
		.amdhsa_system_sgpr_workgroup_info 0
		.amdhsa_system_vgpr_workitem_id 1
		.amdhsa_next_free_vgpr 7
		.amdhsa_next_free_sgpr 16
		.amdhsa_reserve_vcc 1
		.amdhsa_reserve_flat_scratch 0
		.amdhsa_float_round_mode_32 0
		.amdhsa_float_round_mode_16_64 0
		.amdhsa_float_denorm_mode_32 3
		.amdhsa_float_denorm_mode_16_64 3
		.amdhsa_dx10_clamp 1
		.amdhsa_ieee_mode 1
		.amdhsa_fp16_overflow 0
		.amdhsa_exception_fp_ieee_invalid_op 0
		.amdhsa_exception_fp_denorm_src 0
		.amdhsa_exception_fp_ieee_div_zero 0
		.amdhsa_exception_fp_ieee_overflow 0
		.amdhsa_exception_fp_ieee_underflow 0
		.amdhsa_exception_fp_ieee_inexact 0
		.amdhsa_exception_int_div_zero 0
	.end_amdhsa_kernel
	.section	.text._ZL40rocblas_copy_triangular_syrk_herk_kernelILb1ELb1ELb0EdPdLi16ELi16EEviT3_ilPT2_i,"axG",@progbits,_ZL40rocblas_copy_triangular_syrk_herk_kernelILb1ELb1ELb0EdPdLi16ELi16EEviT3_ilPT2_i,comdat
.Lfunc_end4:
	.size	_ZL40rocblas_copy_triangular_syrk_herk_kernelILb1ELb1ELb0EdPdLi16ELi16EEviT3_ilPT2_i, .Lfunc_end4-_ZL40rocblas_copy_triangular_syrk_herk_kernelILb1ELb1ELb0EdPdLi16ELi16EEviT3_ilPT2_i
                                        ; -- End function
	.set _ZL40rocblas_copy_triangular_syrk_herk_kernelILb1ELb1ELb0EdPdLi16ELi16EEviT3_ilPT2_i.num_vgpr, 7
	.set _ZL40rocblas_copy_triangular_syrk_herk_kernelILb1ELb1ELb0EdPdLi16ELi16EEviT3_ilPT2_i.num_agpr, 0
	.set _ZL40rocblas_copy_triangular_syrk_herk_kernelILb1ELb1ELb0EdPdLi16ELi16EEviT3_ilPT2_i.numbered_sgpr, 16
	.set _ZL40rocblas_copy_triangular_syrk_herk_kernelILb1ELb1ELb0EdPdLi16ELi16EEviT3_ilPT2_i.num_named_barrier, 0
	.set _ZL40rocblas_copy_triangular_syrk_herk_kernelILb1ELb1ELb0EdPdLi16ELi16EEviT3_ilPT2_i.private_seg_size, 0
	.set _ZL40rocblas_copy_triangular_syrk_herk_kernelILb1ELb1ELb0EdPdLi16ELi16EEviT3_ilPT2_i.uses_vcc, 1
	.set _ZL40rocblas_copy_triangular_syrk_herk_kernelILb1ELb1ELb0EdPdLi16ELi16EEviT3_ilPT2_i.uses_flat_scratch, 0
	.set _ZL40rocblas_copy_triangular_syrk_herk_kernelILb1ELb1ELb0EdPdLi16ELi16EEviT3_ilPT2_i.has_dyn_sized_stack, 0
	.set _ZL40rocblas_copy_triangular_syrk_herk_kernelILb1ELb1ELb0EdPdLi16ELi16EEviT3_ilPT2_i.has_recursion, 0
	.set _ZL40rocblas_copy_triangular_syrk_herk_kernelILb1ELb1ELb0EdPdLi16ELi16EEviT3_ilPT2_i.has_indirect_call, 0
	.section	.AMDGPU.csdata,"",@progbits
; Kernel info:
; codeLenInByte = 312
; TotalNumSgprs: 20
; NumVgprs: 7
; ScratchSize: 0
; MemoryBound: 0
; FloatMode: 240
; IeeeMode: 1
; LDSByteSize: 0 bytes/workgroup (compile time only)
; SGPRBlocks: 2
; VGPRBlocks: 1
; NumSGPRsForWavesPerEU: 20
; NumVGPRsForWavesPerEU: 7
; Occupancy: 10
; WaveLimiterHint : 0
; COMPUTE_PGM_RSRC2:SCRATCH_EN: 0
; COMPUTE_PGM_RSRC2:USER_SGPR: 6
; COMPUTE_PGM_RSRC2:TRAP_HANDLER: 0
; COMPUTE_PGM_RSRC2:TGID_X_EN: 1
; COMPUTE_PGM_RSRC2:TGID_Y_EN: 1
; COMPUTE_PGM_RSRC2:TGID_Z_EN: 1
; COMPUTE_PGM_RSRC2:TIDIG_COMP_CNT: 1
	.section	.text._ZL40rocblas_copy_triangular_syrk_herk_kernelILb1ELb0ELb0EdPdLi16ELi16EEviT3_ilPT2_i,"axG",@progbits,_ZL40rocblas_copy_triangular_syrk_herk_kernelILb1ELb0ELb0EdPdLi16ELi16EEviT3_ilPT2_i,comdat
	.globl	_ZL40rocblas_copy_triangular_syrk_herk_kernelILb1ELb0ELb0EdPdLi16ELi16EEviT3_ilPT2_i ; -- Begin function _ZL40rocblas_copy_triangular_syrk_herk_kernelILb1ELb0ELb0EdPdLi16ELi16EEviT3_ilPT2_i
	.p2align	8
	.type	_ZL40rocblas_copy_triangular_syrk_herk_kernelILb1ELb0ELb0EdPdLi16ELi16EEviT3_ilPT2_i,@function
_ZL40rocblas_copy_triangular_syrk_herk_kernelILb1ELb0ELb0EdPdLi16ELi16EEviT3_ilPT2_i: ; @_ZL40rocblas_copy_triangular_syrk_herk_kernelILb1ELb0ELb0EdPdLi16ELi16EEviT3_ilPT2_i
; %bb.0:
	s_load_dword s0, s[4:5], 0x3c
	s_load_dword s2, s[4:5], 0x0
	s_waitcnt lgkmcnt(0)
	s_lshr_b32 s1, s0, 16
	s_and_b32 s0, s0, 0xffff
	s_mul_i32 s7, s7, s1
	s_mul_i32 s6, s6, s0
	v_add_u32_e32 v1, s7, v1
	v_add_u32_e32 v0, s6, v0
	v_max_i32_e32 v2, v1, v0
	v_cmp_gt_i32_e32 vcc, s2, v2
	v_cmp_lt_i32_e64 s[0:1], v1, v0
	s_and_b64 s[0:1], s[0:1], vcc
	s_and_saveexec_b64 s[6:7], s[0:1]
	s_cbranch_execz .LBB5_2
; %bb.1:
	s_load_dwordx2 s[0:1], s[4:5], 0x8
	s_load_dword s3, s[4:5], 0x10
	s_load_dwordx4 s[12:15], s[4:5], 0x18
	s_add_i32 s4, s2, -1
	s_mul_hi_i32 s5, s4, s2
	s_mul_i32 s4, s4, s2
	s_lshr_b32 s6, s5, 31
	s_add_u32 s4, s4, s6
	s_addc_u32 s5, s5, 0
	s_ashr_i64 s[4:5], s[4:5], 1
	s_mul_i32 s5, s5, s8
	s_mul_hi_u32 s6, s4, s8
	s_add_i32 s5, s6, s5
	s_mul_i32 s4, s4, s8
	s_lshl_b64 s[4:5], s[4:5], 3
	s_waitcnt lgkmcnt(0)
	s_add_u32 s9, s14, s4
	v_mad_i64_i32 v[3:4], s[6:7], v0, s3, 0
	s_addc_u32 s10, s15, s5
	s_mul_i32 s4, s13, s8
	s_mul_hi_u32 s5, s12, s8
	s_add_i32 s5, s5, s4
	s_mul_i32 s4, s12, s8
	s_lshl_b64 s[4:5], s[4:5], 3
	s_add_u32 s0, s0, s4
	v_lshlrev_b64 v[3:4], 3, v[3:4]
	s_addc_u32 s1, s1, s5
	v_ashrrev_i32_e32 v2, 31, v1
	v_mov_b32_e32 v5, s1
	v_add_co_u32_e32 v6, vcc, s0, v3
	v_lshlrev_b64 v[2:3], 3, v[1:2]
	v_addc_co_u32_e32 v4, vcc, v5, v4, vcc
	v_add_co_u32_e32 v2, vcc, v6, v2
	v_addc_co_u32_e32 v3, vcc, v4, v3, vcc
	global_load_dwordx2 v[2:3], v[2:3], off
	v_not_b32_e32 v4, v1
	v_lshl_add_u32 v5, s2, 1, v4
	v_mul_lo_u32 v1, v5, v1
	v_lshrrev_b32_e32 v5, 31, v1
	v_add_u32_e32 v1, v1, v5
	v_ashrrev_i32_e32 v1, 1, v1
	v_add3_u32 v0, v0, v4, v1
	v_ashrrev_i32_e32 v1, 31, v0
	v_lshlrev_b64 v[0:1], 3, v[0:1]
	v_mov_b32_e32 v4, s10
	v_add_co_u32_e32 v0, vcc, s9, v0
	v_addc_co_u32_e32 v1, vcc, v4, v1, vcc
	s_waitcnt vmcnt(0)
	global_store_dwordx2 v[0:1], v[2:3], off
.LBB5_2:
	s_endpgm
	.section	.rodata,"a",@progbits
	.p2align	6, 0x0
	.amdhsa_kernel _ZL40rocblas_copy_triangular_syrk_herk_kernelILb1ELb0ELb0EdPdLi16ELi16EEviT3_ilPT2_i
		.amdhsa_group_segment_fixed_size 0
		.amdhsa_private_segment_fixed_size 0
		.amdhsa_kernarg_size 304
		.amdhsa_user_sgpr_count 6
		.amdhsa_user_sgpr_private_segment_buffer 1
		.amdhsa_user_sgpr_dispatch_ptr 0
		.amdhsa_user_sgpr_queue_ptr 0
		.amdhsa_user_sgpr_kernarg_segment_ptr 1
		.amdhsa_user_sgpr_dispatch_id 0
		.amdhsa_user_sgpr_flat_scratch_init 0
		.amdhsa_user_sgpr_private_segment_size 0
		.amdhsa_uses_dynamic_stack 0
		.amdhsa_system_sgpr_private_segment_wavefront_offset 0
		.amdhsa_system_sgpr_workgroup_id_x 1
		.amdhsa_system_sgpr_workgroup_id_y 1
		.amdhsa_system_sgpr_workgroup_id_z 1
		.amdhsa_system_sgpr_workgroup_info 0
		.amdhsa_system_vgpr_workitem_id 1
		.amdhsa_next_free_vgpr 7
		.amdhsa_next_free_sgpr 16
		.amdhsa_reserve_vcc 1
		.amdhsa_reserve_flat_scratch 0
		.amdhsa_float_round_mode_32 0
		.amdhsa_float_round_mode_16_64 0
		.amdhsa_float_denorm_mode_32 3
		.amdhsa_float_denorm_mode_16_64 3
		.amdhsa_dx10_clamp 1
		.amdhsa_ieee_mode 1
		.amdhsa_fp16_overflow 0
		.amdhsa_exception_fp_ieee_invalid_op 0
		.amdhsa_exception_fp_denorm_src 0
		.amdhsa_exception_fp_ieee_div_zero 0
		.amdhsa_exception_fp_ieee_overflow 0
		.amdhsa_exception_fp_ieee_underflow 0
		.amdhsa_exception_fp_ieee_inexact 0
		.amdhsa_exception_int_div_zero 0
	.end_amdhsa_kernel
	.section	.text._ZL40rocblas_copy_triangular_syrk_herk_kernelILb1ELb0ELb0EdPdLi16ELi16EEviT3_ilPT2_i,"axG",@progbits,_ZL40rocblas_copy_triangular_syrk_herk_kernelILb1ELb0ELb0EdPdLi16ELi16EEviT3_ilPT2_i,comdat
.Lfunc_end5:
	.size	_ZL40rocblas_copy_triangular_syrk_herk_kernelILb1ELb0ELb0EdPdLi16ELi16EEviT3_ilPT2_i, .Lfunc_end5-_ZL40rocblas_copy_triangular_syrk_herk_kernelILb1ELb0ELb0EdPdLi16ELi16EEviT3_ilPT2_i
                                        ; -- End function
	.set _ZL40rocblas_copy_triangular_syrk_herk_kernelILb1ELb0ELb0EdPdLi16ELi16EEviT3_ilPT2_i.num_vgpr, 7
	.set _ZL40rocblas_copy_triangular_syrk_herk_kernelILb1ELb0ELb0EdPdLi16ELi16EEviT3_ilPT2_i.num_agpr, 0
	.set _ZL40rocblas_copy_triangular_syrk_herk_kernelILb1ELb0ELb0EdPdLi16ELi16EEviT3_ilPT2_i.numbered_sgpr, 16
	.set _ZL40rocblas_copy_triangular_syrk_herk_kernelILb1ELb0ELb0EdPdLi16ELi16EEviT3_ilPT2_i.num_named_barrier, 0
	.set _ZL40rocblas_copy_triangular_syrk_herk_kernelILb1ELb0ELb0EdPdLi16ELi16EEviT3_ilPT2_i.private_seg_size, 0
	.set _ZL40rocblas_copy_triangular_syrk_herk_kernelILb1ELb0ELb0EdPdLi16ELi16EEviT3_ilPT2_i.uses_vcc, 1
	.set _ZL40rocblas_copy_triangular_syrk_herk_kernelILb1ELb0ELb0EdPdLi16ELi16EEviT3_ilPT2_i.uses_flat_scratch, 0
	.set _ZL40rocblas_copy_triangular_syrk_herk_kernelILb1ELb0ELb0EdPdLi16ELi16EEviT3_ilPT2_i.has_dyn_sized_stack, 0
	.set _ZL40rocblas_copy_triangular_syrk_herk_kernelILb1ELb0ELb0EdPdLi16ELi16EEviT3_ilPT2_i.has_recursion, 0
	.set _ZL40rocblas_copy_triangular_syrk_herk_kernelILb1ELb0ELb0EdPdLi16ELi16EEviT3_ilPT2_i.has_indirect_call, 0
	.section	.AMDGPU.csdata,"",@progbits
; Kernel info:
; codeLenInByte = 324
; TotalNumSgprs: 20
; NumVgprs: 7
; ScratchSize: 0
; MemoryBound: 0
; FloatMode: 240
; IeeeMode: 1
; LDSByteSize: 0 bytes/workgroup (compile time only)
; SGPRBlocks: 2
; VGPRBlocks: 1
; NumSGPRsForWavesPerEU: 20
; NumVGPRsForWavesPerEU: 7
; Occupancy: 10
; WaveLimiterHint : 0
; COMPUTE_PGM_RSRC2:SCRATCH_EN: 0
; COMPUTE_PGM_RSRC2:USER_SGPR: 6
; COMPUTE_PGM_RSRC2:TRAP_HANDLER: 0
; COMPUTE_PGM_RSRC2:TGID_X_EN: 1
; COMPUTE_PGM_RSRC2:TGID_Y_EN: 1
; COMPUTE_PGM_RSRC2:TGID_Z_EN: 1
; COMPUTE_PGM_RSRC2:TIDIG_COMP_CNT: 1
	.section	.text._ZL40rocblas_copy_triangular_syrk_herk_kernelILb0ELb1ELb0EdPdLi16ELi16EEviT3_ilPT2_i,"axG",@progbits,_ZL40rocblas_copy_triangular_syrk_herk_kernelILb0ELb1ELb0EdPdLi16ELi16EEviT3_ilPT2_i,comdat
	.globl	_ZL40rocblas_copy_triangular_syrk_herk_kernelILb0ELb1ELb0EdPdLi16ELi16EEviT3_ilPT2_i ; -- Begin function _ZL40rocblas_copy_triangular_syrk_herk_kernelILb0ELb1ELb0EdPdLi16ELi16EEviT3_ilPT2_i
	.p2align	8
	.type	_ZL40rocblas_copy_triangular_syrk_herk_kernelILb0ELb1ELb0EdPdLi16ELi16EEviT3_ilPT2_i,@function
_ZL40rocblas_copy_triangular_syrk_herk_kernelILb0ELb1ELb0EdPdLi16ELi16EEviT3_ilPT2_i: ; @_ZL40rocblas_copy_triangular_syrk_herk_kernelILb0ELb1ELb0EdPdLi16ELi16EEviT3_ilPT2_i
; %bb.0:
	s_load_dword s0, s[4:5], 0x3c
	s_load_dword s9, s[4:5], 0x0
	s_waitcnt lgkmcnt(0)
	s_lshr_b32 s1, s0, 16
	s_and_b32 s0, s0, 0xffff
	s_mul_i32 s7, s7, s1
	s_mul_i32 s6, s6, s0
	v_add_u32_e32 v1, s7, v1
	v_add_u32_e32 v0, s6, v0
	v_max_i32_e32 v2, v1, v0
	v_cmp_gt_i32_e32 vcc, s9, v2
	v_cmp_gt_i32_e64 s[0:1], v1, v0
	s_and_b64 s[0:1], s[0:1], vcc
	s_and_saveexec_b64 s[2:3], s[0:1]
	s_cbranch_execz .LBB6_2
; %bb.1:
	v_add_u32_e32 v2, -1, v1
	s_add_i32 s6, s9, -1
	v_mul_lo_u32 v2, v2, v1
	s_mul_hi_i32 s7, s6, s9
	s_mul_i32 s6, s6, s9
	s_lshr_b32 s9, s7, 31
	s_add_u32 s6, s6, s9
	s_load_dwordx4 s[0:3], s[4:5], 0x18
	s_addc_u32 s7, s7, 0
	v_lshrrev_b32_e32 v3, 31, v2
	s_ashr_i64 s[6:7], s[6:7], 1
	v_add_u32_e32 v2, v2, v3
	s_mul_i32 s7, s7, s8
	s_mul_hi_u32 s9, s6, s8
	v_ashrrev_i32_e32 v2, 1, v2
	s_add_i32 s7, s9, s7
	s_mul_i32 s6, s6, s8
	v_add_u32_e32 v2, v2, v0
	s_lshl_b64 s[6:7], s[6:7], 3
	v_ashrrev_i32_e32 v3, 31, v2
	s_waitcnt lgkmcnt(0)
	s_add_u32 s2, s2, s6
	v_lshlrev_b64 v[2:3], 3, v[2:3]
	s_addc_u32 s3, s3, s7
	v_mov_b32_e32 v4, s3
	v_add_co_u32_e32 v2, vcc, s2, v2
	v_addc_co_u32_e32 v3, vcc, v4, v3, vcc
	global_load_dwordx2 v[3:4], v[2:3], off
	s_load_dwordx2 s[2:3], s[4:5], 0x8
	s_load_dword s6, s[4:5], 0x10
	s_mul_i32 s1, s1, s8
	s_mul_hi_u32 s4, s0, s8
	s_add_i32 s1, s4, s1
	s_mul_i32 s0, s0, s8
	s_waitcnt lgkmcnt(0)
	v_mad_i64_i32 v[5:6], s[4:5], v0, s6, 0
	s_lshl_b64 s[0:1], s[0:1], 3
	s_add_u32 s0, s2, s0
	v_lshlrev_b64 v[5:6], 3, v[5:6]
	s_addc_u32 s1, s3, s1
	v_ashrrev_i32_e32 v2, 31, v1
	v_mov_b32_e32 v0, s1
	v_add_co_u32_e32 v5, vcc, s0, v5
	v_addc_co_u32_e32 v6, vcc, v0, v6, vcc
	v_lshlrev_b64 v[0:1], 3, v[1:2]
	v_add_co_u32_e32 v0, vcc, v5, v0
	v_addc_co_u32_e32 v1, vcc, v6, v1, vcc
	s_waitcnt vmcnt(0)
	global_store_dwordx2 v[0:1], v[3:4], off
.LBB6_2:
	s_endpgm
	.section	.rodata,"a",@progbits
	.p2align	6, 0x0
	.amdhsa_kernel _ZL40rocblas_copy_triangular_syrk_herk_kernelILb0ELb1ELb0EdPdLi16ELi16EEviT3_ilPT2_i
		.amdhsa_group_segment_fixed_size 0
		.amdhsa_private_segment_fixed_size 0
		.amdhsa_kernarg_size 304
		.amdhsa_user_sgpr_count 6
		.amdhsa_user_sgpr_private_segment_buffer 1
		.amdhsa_user_sgpr_dispatch_ptr 0
		.amdhsa_user_sgpr_queue_ptr 0
		.amdhsa_user_sgpr_kernarg_segment_ptr 1
		.amdhsa_user_sgpr_dispatch_id 0
		.amdhsa_user_sgpr_flat_scratch_init 0
		.amdhsa_user_sgpr_private_segment_size 0
		.amdhsa_uses_dynamic_stack 0
		.amdhsa_system_sgpr_private_segment_wavefront_offset 0
		.amdhsa_system_sgpr_workgroup_id_x 1
		.amdhsa_system_sgpr_workgroup_id_y 1
		.amdhsa_system_sgpr_workgroup_id_z 1
		.amdhsa_system_sgpr_workgroup_info 0
		.amdhsa_system_vgpr_workitem_id 1
		.amdhsa_next_free_vgpr 7
		.amdhsa_next_free_sgpr 10
		.amdhsa_reserve_vcc 1
		.amdhsa_reserve_flat_scratch 0
		.amdhsa_float_round_mode_32 0
		.amdhsa_float_round_mode_16_64 0
		.amdhsa_float_denorm_mode_32 3
		.amdhsa_float_denorm_mode_16_64 3
		.amdhsa_dx10_clamp 1
		.amdhsa_ieee_mode 1
		.amdhsa_fp16_overflow 0
		.amdhsa_exception_fp_ieee_invalid_op 0
		.amdhsa_exception_fp_denorm_src 0
		.amdhsa_exception_fp_ieee_div_zero 0
		.amdhsa_exception_fp_ieee_overflow 0
		.amdhsa_exception_fp_ieee_underflow 0
		.amdhsa_exception_fp_ieee_inexact 0
		.amdhsa_exception_int_div_zero 0
	.end_amdhsa_kernel
	.section	.text._ZL40rocblas_copy_triangular_syrk_herk_kernelILb0ELb1ELb0EdPdLi16ELi16EEviT3_ilPT2_i,"axG",@progbits,_ZL40rocblas_copy_triangular_syrk_herk_kernelILb0ELb1ELb0EdPdLi16ELi16EEviT3_ilPT2_i,comdat
.Lfunc_end6:
	.size	_ZL40rocblas_copy_triangular_syrk_herk_kernelILb0ELb1ELb0EdPdLi16ELi16EEviT3_ilPT2_i, .Lfunc_end6-_ZL40rocblas_copy_triangular_syrk_herk_kernelILb0ELb1ELb0EdPdLi16ELi16EEviT3_ilPT2_i
                                        ; -- End function
	.set _ZL40rocblas_copy_triangular_syrk_herk_kernelILb0ELb1ELb0EdPdLi16ELi16EEviT3_ilPT2_i.num_vgpr, 7
	.set _ZL40rocblas_copy_triangular_syrk_herk_kernelILb0ELb1ELb0EdPdLi16ELi16EEviT3_ilPT2_i.num_agpr, 0
	.set _ZL40rocblas_copy_triangular_syrk_herk_kernelILb0ELb1ELb0EdPdLi16ELi16EEviT3_ilPT2_i.numbered_sgpr, 10
	.set _ZL40rocblas_copy_triangular_syrk_herk_kernelILb0ELb1ELb0EdPdLi16ELi16EEviT3_ilPT2_i.num_named_barrier, 0
	.set _ZL40rocblas_copy_triangular_syrk_herk_kernelILb0ELb1ELb0EdPdLi16ELi16EEviT3_ilPT2_i.private_seg_size, 0
	.set _ZL40rocblas_copy_triangular_syrk_herk_kernelILb0ELb1ELb0EdPdLi16ELi16EEviT3_ilPT2_i.uses_vcc, 1
	.set _ZL40rocblas_copy_triangular_syrk_herk_kernelILb0ELb1ELb0EdPdLi16ELi16EEviT3_ilPT2_i.uses_flat_scratch, 0
	.set _ZL40rocblas_copy_triangular_syrk_herk_kernelILb0ELb1ELb0EdPdLi16ELi16EEviT3_ilPT2_i.has_dyn_sized_stack, 0
	.set _ZL40rocblas_copy_triangular_syrk_herk_kernelILb0ELb1ELb0EdPdLi16ELi16EEviT3_ilPT2_i.has_recursion, 0
	.set _ZL40rocblas_copy_triangular_syrk_herk_kernelILb0ELb1ELb0EdPdLi16ELi16EEviT3_ilPT2_i.has_indirect_call, 0
	.section	.AMDGPU.csdata,"",@progbits
; Kernel info:
; codeLenInByte = 316
; TotalNumSgprs: 14
; NumVgprs: 7
; ScratchSize: 0
; MemoryBound: 0
; FloatMode: 240
; IeeeMode: 1
; LDSByteSize: 0 bytes/workgroup (compile time only)
; SGPRBlocks: 1
; VGPRBlocks: 1
; NumSGPRsForWavesPerEU: 14
; NumVGPRsForWavesPerEU: 7
; Occupancy: 10
; WaveLimiterHint : 0
; COMPUTE_PGM_RSRC2:SCRATCH_EN: 0
; COMPUTE_PGM_RSRC2:USER_SGPR: 6
; COMPUTE_PGM_RSRC2:TRAP_HANDLER: 0
; COMPUTE_PGM_RSRC2:TGID_X_EN: 1
; COMPUTE_PGM_RSRC2:TGID_Y_EN: 1
; COMPUTE_PGM_RSRC2:TGID_Z_EN: 1
; COMPUTE_PGM_RSRC2:TIDIG_COMP_CNT: 1
	.section	.text._ZL40rocblas_copy_triangular_syrk_herk_kernelILb0ELb0ELb0EdPdLi16ELi16EEviT3_ilPT2_i,"axG",@progbits,_ZL40rocblas_copy_triangular_syrk_herk_kernelILb0ELb0ELb0EdPdLi16ELi16EEviT3_ilPT2_i,comdat
	.globl	_ZL40rocblas_copy_triangular_syrk_herk_kernelILb0ELb0ELb0EdPdLi16ELi16EEviT3_ilPT2_i ; -- Begin function _ZL40rocblas_copy_triangular_syrk_herk_kernelILb0ELb0ELb0EdPdLi16ELi16EEviT3_ilPT2_i
	.p2align	8
	.type	_ZL40rocblas_copy_triangular_syrk_herk_kernelILb0ELb0ELb0EdPdLi16ELi16EEviT3_ilPT2_i,@function
_ZL40rocblas_copy_triangular_syrk_herk_kernelILb0ELb0ELb0EdPdLi16ELi16EEviT3_ilPT2_i: ; @_ZL40rocblas_copy_triangular_syrk_herk_kernelILb0ELb0ELb0EdPdLi16ELi16EEviT3_ilPT2_i
; %bb.0:
	s_load_dword s0, s[4:5], 0x3c
	s_load_dword s9, s[4:5], 0x0
	s_waitcnt lgkmcnt(0)
	s_lshr_b32 s1, s0, 16
	s_and_b32 s0, s0, 0xffff
	s_mul_i32 s7, s7, s1
	s_mul_i32 s6, s6, s0
	v_add_u32_e32 v1, s7, v1
	v_add_u32_e32 v0, s6, v0
	v_max_i32_e32 v2, v1, v0
	v_cmp_gt_i32_e32 vcc, s9, v2
	v_cmp_lt_i32_e64 s[0:1], v1, v0
	s_and_b64 s[0:1], s[0:1], vcc
	s_and_saveexec_b64 s[2:3], s[0:1]
	s_cbranch_execz .LBB7_2
; %bb.1:
	v_not_b32_e32 v2, v1
	v_lshl_add_u32 v3, s9, 1, v2
	s_add_i32 s6, s9, -1
	v_mul_lo_u32 v3, v3, v1
	s_mul_hi_i32 s7, s6, s9
	s_mul_i32 s6, s6, s9
	s_lshr_b32 s10, s7, 31
	s_add_u32 s6, s6, s10
	s_load_dwordx4 s[0:3], s[4:5], 0x18
	s_addc_u32 s7, s7, 0
	v_lshrrev_b32_e32 v4, 31, v3
	s_ashr_i64 s[6:7], s[6:7], 1
	v_add_u32_e32 v3, v3, v4
	s_mul_i32 s7, s7, s8
	s_mul_hi_u32 s10, s6, s8
	v_ashrrev_i32_e32 v3, 1, v3
	s_add_i32 s7, s10, s7
	s_mul_i32 s6, s6, s8
	v_add3_u32 v2, v0, v2, v3
	s_lshl_b64 s[6:7], s[6:7], 3
	v_ashrrev_i32_e32 v3, 31, v2
	s_waitcnt lgkmcnt(0)
	s_add_u32 s2, s2, s6
	v_lshlrev_b64 v[2:3], 3, v[2:3]
	s_addc_u32 s3, s3, s7
	v_mov_b32_e32 v4, s3
	v_add_co_u32_e32 v2, vcc, s2, v2
	v_addc_co_u32_e32 v3, vcc, v4, v3, vcc
	global_load_dwordx2 v[3:4], v[2:3], off
	s_load_dwordx2 s[2:3], s[4:5], 0x8
	s_load_dword s6, s[4:5], 0x10
	s_mul_i32 s1, s1, s8
	s_mul_hi_u32 s4, s0, s8
	s_add_i32 s1, s4, s1
	s_mul_i32 s0, s0, s8
	s_waitcnt lgkmcnt(0)
	v_mad_i64_i32 v[5:6], s[4:5], v0, s6, 0
	s_lshl_b64 s[0:1], s[0:1], 3
	s_add_u32 s0, s2, s0
	v_lshlrev_b64 v[5:6], 3, v[5:6]
	s_addc_u32 s1, s3, s1
	v_ashrrev_i32_e32 v2, 31, v1
	v_mov_b32_e32 v0, s1
	v_add_co_u32_e32 v5, vcc, s0, v5
	v_addc_co_u32_e32 v6, vcc, v0, v6, vcc
	v_lshlrev_b64 v[0:1], 3, v[1:2]
	v_add_co_u32_e32 v0, vcc, v5, v0
	v_addc_co_u32_e32 v1, vcc, v6, v1, vcc
	s_waitcnt vmcnt(0)
	global_store_dwordx2 v[0:1], v[3:4], off
.LBB7_2:
	s_endpgm
	.section	.rodata,"a",@progbits
	.p2align	6, 0x0
	.amdhsa_kernel _ZL40rocblas_copy_triangular_syrk_herk_kernelILb0ELb0ELb0EdPdLi16ELi16EEviT3_ilPT2_i
		.amdhsa_group_segment_fixed_size 0
		.amdhsa_private_segment_fixed_size 0
		.amdhsa_kernarg_size 304
		.amdhsa_user_sgpr_count 6
		.amdhsa_user_sgpr_private_segment_buffer 1
		.amdhsa_user_sgpr_dispatch_ptr 0
		.amdhsa_user_sgpr_queue_ptr 0
		.amdhsa_user_sgpr_kernarg_segment_ptr 1
		.amdhsa_user_sgpr_dispatch_id 0
		.amdhsa_user_sgpr_flat_scratch_init 0
		.amdhsa_user_sgpr_private_segment_size 0
		.amdhsa_uses_dynamic_stack 0
		.amdhsa_system_sgpr_private_segment_wavefront_offset 0
		.amdhsa_system_sgpr_workgroup_id_x 1
		.amdhsa_system_sgpr_workgroup_id_y 1
		.amdhsa_system_sgpr_workgroup_id_z 1
		.amdhsa_system_sgpr_workgroup_info 0
		.amdhsa_system_vgpr_workitem_id 1
		.amdhsa_next_free_vgpr 7
		.amdhsa_next_free_sgpr 11
		.amdhsa_reserve_vcc 1
		.amdhsa_reserve_flat_scratch 0
		.amdhsa_float_round_mode_32 0
		.amdhsa_float_round_mode_16_64 0
		.amdhsa_float_denorm_mode_32 3
		.amdhsa_float_denorm_mode_16_64 3
		.amdhsa_dx10_clamp 1
		.amdhsa_ieee_mode 1
		.amdhsa_fp16_overflow 0
		.amdhsa_exception_fp_ieee_invalid_op 0
		.amdhsa_exception_fp_denorm_src 0
		.amdhsa_exception_fp_ieee_div_zero 0
		.amdhsa_exception_fp_ieee_overflow 0
		.amdhsa_exception_fp_ieee_underflow 0
		.amdhsa_exception_fp_ieee_inexact 0
		.amdhsa_exception_int_div_zero 0
	.end_amdhsa_kernel
	.section	.text._ZL40rocblas_copy_triangular_syrk_herk_kernelILb0ELb0ELb0EdPdLi16ELi16EEviT3_ilPT2_i,"axG",@progbits,_ZL40rocblas_copy_triangular_syrk_herk_kernelILb0ELb0ELb0EdPdLi16ELi16EEviT3_ilPT2_i,comdat
.Lfunc_end7:
	.size	_ZL40rocblas_copy_triangular_syrk_herk_kernelILb0ELb0ELb0EdPdLi16ELi16EEviT3_ilPT2_i, .Lfunc_end7-_ZL40rocblas_copy_triangular_syrk_herk_kernelILb0ELb0ELb0EdPdLi16ELi16EEviT3_ilPT2_i
                                        ; -- End function
	.set _ZL40rocblas_copy_triangular_syrk_herk_kernelILb0ELb0ELb0EdPdLi16ELi16EEviT3_ilPT2_i.num_vgpr, 7
	.set _ZL40rocblas_copy_triangular_syrk_herk_kernelILb0ELb0ELb0EdPdLi16ELi16EEviT3_ilPT2_i.num_agpr, 0
	.set _ZL40rocblas_copy_triangular_syrk_herk_kernelILb0ELb0ELb0EdPdLi16ELi16EEviT3_ilPT2_i.numbered_sgpr, 11
	.set _ZL40rocblas_copy_triangular_syrk_herk_kernelILb0ELb0ELb0EdPdLi16ELi16EEviT3_ilPT2_i.num_named_barrier, 0
	.set _ZL40rocblas_copy_triangular_syrk_herk_kernelILb0ELb0ELb0EdPdLi16ELi16EEviT3_ilPT2_i.private_seg_size, 0
	.set _ZL40rocblas_copy_triangular_syrk_herk_kernelILb0ELb0ELb0EdPdLi16ELi16EEviT3_ilPT2_i.uses_vcc, 1
	.set _ZL40rocblas_copy_triangular_syrk_herk_kernelILb0ELb0ELb0EdPdLi16ELi16EEviT3_ilPT2_i.uses_flat_scratch, 0
	.set _ZL40rocblas_copy_triangular_syrk_herk_kernelILb0ELb0ELb0EdPdLi16ELi16EEviT3_ilPT2_i.has_dyn_sized_stack, 0
	.set _ZL40rocblas_copy_triangular_syrk_herk_kernelILb0ELb0ELb0EdPdLi16ELi16EEviT3_ilPT2_i.has_recursion, 0
	.set _ZL40rocblas_copy_triangular_syrk_herk_kernelILb0ELb0ELb0EdPdLi16ELi16EEviT3_ilPT2_i.has_indirect_call, 0
	.section	.AMDGPU.csdata,"",@progbits
; Kernel info:
; codeLenInByte = 328
; TotalNumSgprs: 15
; NumVgprs: 7
; ScratchSize: 0
; MemoryBound: 0
; FloatMode: 240
; IeeeMode: 1
; LDSByteSize: 0 bytes/workgroup (compile time only)
; SGPRBlocks: 1
; VGPRBlocks: 1
; NumSGPRsForWavesPerEU: 15
; NumVGPRsForWavesPerEU: 7
; Occupancy: 10
; WaveLimiterHint : 0
; COMPUTE_PGM_RSRC2:SCRATCH_EN: 0
; COMPUTE_PGM_RSRC2:USER_SGPR: 6
; COMPUTE_PGM_RSRC2:TRAP_HANDLER: 0
; COMPUTE_PGM_RSRC2:TGID_X_EN: 1
; COMPUTE_PGM_RSRC2:TGID_Y_EN: 1
; COMPUTE_PGM_RSRC2:TGID_Z_EN: 1
; COMPUTE_PGM_RSRC2:TIDIG_COMP_CNT: 1
	.section	.text._ZL40rocblas_copy_triangular_syrk_herk_kernelILb1ELb1ELb0E19rocblas_complex_numIfEPS1_Li16ELi16EEviT3_ilPT2_i,"axG",@progbits,_ZL40rocblas_copy_triangular_syrk_herk_kernelILb1ELb1ELb0E19rocblas_complex_numIfEPS1_Li16ELi16EEviT3_ilPT2_i,comdat
	.globl	_ZL40rocblas_copy_triangular_syrk_herk_kernelILb1ELb1ELb0E19rocblas_complex_numIfEPS1_Li16ELi16EEviT3_ilPT2_i ; -- Begin function _ZL40rocblas_copy_triangular_syrk_herk_kernelILb1ELb1ELb0E19rocblas_complex_numIfEPS1_Li16ELi16EEviT3_ilPT2_i
	.p2align	8
	.type	_ZL40rocblas_copy_triangular_syrk_herk_kernelILb1ELb1ELb0E19rocblas_complex_numIfEPS1_Li16ELi16EEviT3_ilPT2_i,@function
_ZL40rocblas_copy_triangular_syrk_herk_kernelILb1ELb1ELb0E19rocblas_complex_numIfEPS1_Li16ELi16EEviT3_ilPT2_i: ; @_ZL40rocblas_copy_triangular_syrk_herk_kernelILb1ELb1ELb0E19rocblas_complex_numIfEPS1_Li16ELi16EEviT3_ilPT2_i
; %bb.0:
	s_load_dword s0, s[4:5], 0x3c
	s_load_dword s2, s[4:5], 0x0
	s_waitcnt lgkmcnt(0)
	s_lshr_b32 s1, s0, 16
	s_and_b32 s0, s0, 0xffff
	s_mul_i32 s7, s7, s1
	s_mul_i32 s6, s6, s0
	v_add_u32_e32 v1, s7, v1
	v_add_u32_e32 v0, s6, v0
	v_max_i32_e32 v2, v1, v0
	v_cmp_gt_i32_e32 vcc, s2, v2
	v_cmp_gt_i32_e64 s[0:1], v1, v0
	s_and_b64 s[0:1], s[0:1], vcc
	s_and_saveexec_b64 s[6:7], s[0:1]
	s_cbranch_execz .LBB8_2
; %bb.1:
	s_add_i32 s3, s2, -1
	s_load_dwordx2 s[0:1], s[4:5], 0x8
	s_load_dword s6, s[4:5], 0x10
	s_load_dwordx4 s[12:15], s[4:5], 0x18
	s_mul_hi_i32 s4, s3, s2
	s_mul_i32 s3, s3, s2
	s_lshr_b32 s2, s4, 31
	s_add_u32 s2, s3, s2
	s_addc_u32 s3, s4, 0
	s_ashr_i64 s[2:3], s[2:3], 1
	s_mul_i32 s3, s3, s8
	s_mul_hi_u32 s4, s2, s8
	s_add_i32 s3, s4, s3
	s_mul_i32 s2, s2, s8
	s_lshl_b64 s[2:3], s[2:3], 3
	s_waitcnt lgkmcnt(0)
	s_add_u32 s7, s14, s2
	v_mad_i64_i32 v[3:4], s[4:5], v0, s6, 0
	s_addc_u32 s9, s15, s3
	s_mul_i32 s2, s13, s8
	s_mul_hi_u32 s3, s12, s8
	s_add_i32 s3, s3, s2
	s_mul_i32 s2, s12, s8
	s_lshl_b64 s[2:3], s[2:3], 3
	s_add_u32 s0, s0, s2
	v_lshlrev_b64 v[3:4], 3, v[3:4]
	s_addc_u32 s1, s1, s3
	v_ashrrev_i32_e32 v2, 31, v1
	v_mov_b32_e32 v5, s1
	v_add_co_u32_e32 v6, vcc, s0, v3
	v_lshlrev_b64 v[2:3], 3, v[1:2]
	v_addc_co_u32_e32 v4, vcc, v5, v4, vcc
	v_add_co_u32_e32 v2, vcc, v6, v2
	v_addc_co_u32_e32 v3, vcc, v4, v3, vcc
	global_load_dwordx2 v[2:3], v[2:3], off
	v_add_u32_e32 v4, -1, v1
	v_mul_lo_u32 v1, v4, v1
	v_lshrrev_b32_e32 v4, 31, v1
	v_add_u32_e32 v1, v1, v4
	v_ashrrev_i32_e32 v1, 1, v1
	v_add_u32_e32 v0, v1, v0
	v_ashrrev_i32_e32 v1, 31, v0
	v_lshlrev_b64 v[0:1], 3, v[0:1]
	v_mov_b32_e32 v4, s9
	v_add_co_u32_e32 v0, vcc, s7, v0
	v_addc_co_u32_e32 v1, vcc, v4, v1, vcc
	s_waitcnt vmcnt(0)
	global_store_dwordx2 v[0:1], v[2:3], off
.LBB8_2:
	s_endpgm
	.section	.rodata,"a",@progbits
	.p2align	6, 0x0
	.amdhsa_kernel _ZL40rocblas_copy_triangular_syrk_herk_kernelILb1ELb1ELb0E19rocblas_complex_numIfEPS1_Li16ELi16EEviT3_ilPT2_i
		.amdhsa_group_segment_fixed_size 0
		.amdhsa_private_segment_fixed_size 0
		.amdhsa_kernarg_size 304
		.amdhsa_user_sgpr_count 6
		.amdhsa_user_sgpr_private_segment_buffer 1
		.amdhsa_user_sgpr_dispatch_ptr 0
		.amdhsa_user_sgpr_queue_ptr 0
		.amdhsa_user_sgpr_kernarg_segment_ptr 1
		.amdhsa_user_sgpr_dispatch_id 0
		.amdhsa_user_sgpr_flat_scratch_init 0
		.amdhsa_user_sgpr_private_segment_size 0
		.amdhsa_uses_dynamic_stack 0
		.amdhsa_system_sgpr_private_segment_wavefront_offset 0
		.amdhsa_system_sgpr_workgroup_id_x 1
		.amdhsa_system_sgpr_workgroup_id_y 1
		.amdhsa_system_sgpr_workgroup_id_z 1
		.amdhsa_system_sgpr_workgroup_info 0
		.amdhsa_system_vgpr_workitem_id 1
		.amdhsa_next_free_vgpr 7
		.amdhsa_next_free_sgpr 16
		.amdhsa_reserve_vcc 1
		.amdhsa_reserve_flat_scratch 0
		.amdhsa_float_round_mode_32 0
		.amdhsa_float_round_mode_16_64 0
		.amdhsa_float_denorm_mode_32 3
		.amdhsa_float_denorm_mode_16_64 3
		.amdhsa_dx10_clamp 1
		.amdhsa_ieee_mode 1
		.amdhsa_fp16_overflow 0
		.amdhsa_exception_fp_ieee_invalid_op 0
		.amdhsa_exception_fp_denorm_src 0
		.amdhsa_exception_fp_ieee_div_zero 0
		.amdhsa_exception_fp_ieee_overflow 0
		.amdhsa_exception_fp_ieee_underflow 0
		.amdhsa_exception_fp_ieee_inexact 0
		.amdhsa_exception_int_div_zero 0
	.end_amdhsa_kernel
	.section	.text._ZL40rocblas_copy_triangular_syrk_herk_kernelILb1ELb1ELb0E19rocblas_complex_numIfEPS1_Li16ELi16EEviT3_ilPT2_i,"axG",@progbits,_ZL40rocblas_copy_triangular_syrk_herk_kernelILb1ELb1ELb0E19rocblas_complex_numIfEPS1_Li16ELi16EEviT3_ilPT2_i,comdat
.Lfunc_end8:
	.size	_ZL40rocblas_copy_triangular_syrk_herk_kernelILb1ELb1ELb0E19rocblas_complex_numIfEPS1_Li16ELi16EEviT3_ilPT2_i, .Lfunc_end8-_ZL40rocblas_copy_triangular_syrk_herk_kernelILb1ELb1ELb0E19rocblas_complex_numIfEPS1_Li16ELi16EEviT3_ilPT2_i
                                        ; -- End function
	.set _ZL40rocblas_copy_triangular_syrk_herk_kernelILb1ELb1ELb0E19rocblas_complex_numIfEPS1_Li16ELi16EEviT3_ilPT2_i.num_vgpr, 7
	.set _ZL40rocblas_copy_triangular_syrk_herk_kernelILb1ELb1ELb0E19rocblas_complex_numIfEPS1_Li16ELi16EEviT3_ilPT2_i.num_agpr, 0
	.set _ZL40rocblas_copy_triangular_syrk_herk_kernelILb1ELb1ELb0E19rocblas_complex_numIfEPS1_Li16ELi16EEviT3_ilPT2_i.numbered_sgpr, 16
	.set _ZL40rocblas_copy_triangular_syrk_herk_kernelILb1ELb1ELb0E19rocblas_complex_numIfEPS1_Li16ELi16EEviT3_ilPT2_i.num_named_barrier, 0
	.set _ZL40rocblas_copy_triangular_syrk_herk_kernelILb1ELb1ELb0E19rocblas_complex_numIfEPS1_Li16ELi16EEviT3_ilPT2_i.private_seg_size, 0
	.set _ZL40rocblas_copy_triangular_syrk_herk_kernelILb1ELb1ELb0E19rocblas_complex_numIfEPS1_Li16ELi16EEviT3_ilPT2_i.uses_vcc, 1
	.set _ZL40rocblas_copy_triangular_syrk_herk_kernelILb1ELb1ELb0E19rocblas_complex_numIfEPS1_Li16ELi16EEviT3_ilPT2_i.uses_flat_scratch, 0
	.set _ZL40rocblas_copy_triangular_syrk_herk_kernelILb1ELb1ELb0E19rocblas_complex_numIfEPS1_Li16ELi16EEviT3_ilPT2_i.has_dyn_sized_stack, 0
	.set _ZL40rocblas_copy_triangular_syrk_herk_kernelILb1ELb1ELb0E19rocblas_complex_numIfEPS1_Li16ELi16EEviT3_ilPT2_i.has_recursion, 0
	.set _ZL40rocblas_copy_triangular_syrk_herk_kernelILb1ELb1ELb0E19rocblas_complex_numIfEPS1_Li16ELi16EEviT3_ilPT2_i.has_indirect_call, 0
	.section	.AMDGPU.csdata,"",@progbits
; Kernel info:
; codeLenInByte = 312
; TotalNumSgprs: 20
; NumVgprs: 7
; ScratchSize: 0
; MemoryBound: 0
; FloatMode: 240
; IeeeMode: 1
; LDSByteSize: 0 bytes/workgroup (compile time only)
; SGPRBlocks: 2
; VGPRBlocks: 1
; NumSGPRsForWavesPerEU: 20
; NumVGPRsForWavesPerEU: 7
; Occupancy: 10
; WaveLimiterHint : 0
; COMPUTE_PGM_RSRC2:SCRATCH_EN: 0
; COMPUTE_PGM_RSRC2:USER_SGPR: 6
; COMPUTE_PGM_RSRC2:TRAP_HANDLER: 0
; COMPUTE_PGM_RSRC2:TGID_X_EN: 1
; COMPUTE_PGM_RSRC2:TGID_Y_EN: 1
; COMPUTE_PGM_RSRC2:TGID_Z_EN: 1
; COMPUTE_PGM_RSRC2:TIDIG_COMP_CNT: 1
	.section	.text._ZL40rocblas_copy_triangular_syrk_herk_kernelILb1ELb0ELb0E19rocblas_complex_numIfEPS1_Li16ELi16EEviT3_ilPT2_i,"axG",@progbits,_ZL40rocblas_copy_triangular_syrk_herk_kernelILb1ELb0ELb0E19rocblas_complex_numIfEPS1_Li16ELi16EEviT3_ilPT2_i,comdat
	.globl	_ZL40rocblas_copy_triangular_syrk_herk_kernelILb1ELb0ELb0E19rocblas_complex_numIfEPS1_Li16ELi16EEviT3_ilPT2_i ; -- Begin function _ZL40rocblas_copy_triangular_syrk_herk_kernelILb1ELb0ELb0E19rocblas_complex_numIfEPS1_Li16ELi16EEviT3_ilPT2_i
	.p2align	8
	.type	_ZL40rocblas_copy_triangular_syrk_herk_kernelILb1ELb0ELb0E19rocblas_complex_numIfEPS1_Li16ELi16EEviT3_ilPT2_i,@function
_ZL40rocblas_copy_triangular_syrk_herk_kernelILb1ELb0ELb0E19rocblas_complex_numIfEPS1_Li16ELi16EEviT3_ilPT2_i: ; @_ZL40rocblas_copy_triangular_syrk_herk_kernelILb1ELb0ELb0E19rocblas_complex_numIfEPS1_Li16ELi16EEviT3_ilPT2_i
; %bb.0:
	s_load_dword s0, s[4:5], 0x3c
	s_load_dword s2, s[4:5], 0x0
	s_waitcnt lgkmcnt(0)
	s_lshr_b32 s1, s0, 16
	s_and_b32 s0, s0, 0xffff
	s_mul_i32 s7, s7, s1
	s_mul_i32 s6, s6, s0
	v_add_u32_e32 v1, s7, v1
	v_add_u32_e32 v0, s6, v0
	v_max_i32_e32 v2, v1, v0
	v_cmp_gt_i32_e32 vcc, s2, v2
	v_cmp_lt_i32_e64 s[0:1], v1, v0
	s_and_b64 s[0:1], s[0:1], vcc
	s_and_saveexec_b64 s[6:7], s[0:1]
	s_cbranch_execz .LBB9_2
; %bb.1:
	s_load_dwordx2 s[0:1], s[4:5], 0x8
	s_load_dword s3, s[4:5], 0x10
	s_load_dwordx4 s[12:15], s[4:5], 0x18
	s_add_i32 s4, s2, -1
	s_mul_hi_i32 s5, s4, s2
	s_mul_i32 s4, s4, s2
	s_lshr_b32 s6, s5, 31
	s_add_u32 s4, s4, s6
	s_addc_u32 s5, s5, 0
	s_ashr_i64 s[4:5], s[4:5], 1
	s_mul_i32 s5, s5, s8
	s_mul_hi_u32 s6, s4, s8
	s_add_i32 s5, s6, s5
	s_mul_i32 s4, s4, s8
	s_lshl_b64 s[4:5], s[4:5], 3
	s_waitcnt lgkmcnt(0)
	s_add_u32 s9, s14, s4
	v_mad_i64_i32 v[3:4], s[6:7], v0, s3, 0
	s_addc_u32 s10, s15, s5
	s_mul_i32 s4, s13, s8
	s_mul_hi_u32 s5, s12, s8
	s_add_i32 s5, s5, s4
	s_mul_i32 s4, s12, s8
	s_lshl_b64 s[4:5], s[4:5], 3
	s_add_u32 s0, s0, s4
	v_lshlrev_b64 v[3:4], 3, v[3:4]
	s_addc_u32 s1, s1, s5
	v_ashrrev_i32_e32 v2, 31, v1
	v_mov_b32_e32 v5, s1
	v_add_co_u32_e32 v6, vcc, s0, v3
	v_lshlrev_b64 v[2:3], 3, v[1:2]
	v_addc_co_u32_e32 v4, vcc, v5, v4, vcc
	v_add_co_u32_e32 v2, vcc, v6, v2
	v_addc_co_u32_e32 v3, vcc, v4, v3, vcc
	global_load_dwordx2 v[2:3], v[2:3], off
	v_not_b32_e32 v4, v1
	v_lshl_add_u32 v5, s2, 1, v4
	v_mul_lo_u32 v1, v5, v1
	v_lshrrev_b32_e32 v5, 31, v1
	v_add_u32_e32 v1, v1, v5
	v_ashrrev_i32_e32 v1, 1, v1
	v_add3_u32 v0, v0, v4, v1
	v_ashrrev_i32_e32 v1, 31, v0
	v_lshlrev_b64 v[0:1], 3, v[0:1]
	v_mov_b32_e32 v4, s10
	v_add_co_u32_e32 v0, vcc, s9, v0
	v_addc_co_u32_e32 v1, vcc, v4, v1, vcc
	s_waitcnt vmcnt(0)
	global_store_dwordx2 v[0:1], v[2:3], off
.LBB9_2:
	s_endpgm
	.section	.rodata,"a",@progbits
	.p2align	6, 0x0
	.amdhsa_kernel _ZL40rocblas_copy_triangular_syrk_herk_kernelILb1ELb0ELb0E19rocblas_complex_numIfEPS1_Li16ELi16EEviT3_ilPT2_i
		.amdhsa_group_segment_fixed_size 0
		.amdhsa_private_segment_fixed_size 0
		.amdhsa_kernarg_size 304
		.amdhsa_user_sgpr_count 6
		.amdhsa_user_sgpr_private_segment_buffer 1
		.amdhsa_user_sgpr_dispatch_ptr 0
		.amdhsa_user_sgpr_queue_ptr 0
		.amdhsa_user_sgpr_kernarg_segment_ptr 1
		.amdhsa_user_sgpr_dispatch_id 0
		.amdhsa_user_sgpr_flat_scratch_init 0
		.amdhsa_user_sgpr_private_segment_size 0
		.amdhsa_uses_dynamic_stack 0
		.amdhsa_system_sgpr_private_segment_wavefront_offset 0
		.amdhsa_system_sgpr_workgroup_id_x 1
		.amdhsa_system_sgpr_workgroup_id_y 1
		.amdhsa_system_sgpr_workgroup_id_z 1
		.amdhsa_system_sgpr_workgroup_info 0
		.amdhsa_system_vgpr_workitem_id 1
		.amdhsa_next_free_vgpr 7
		.amdhsa_next_free_sgpr 16
		.amdhsa_reserve_vcc 1
		.amdhsa_reserve_flat_scratch 0
		.amdhsa_float_round_mode_32 0
		.amdhsa_float_round_mode_16_64 0
		.amdhsa_float_denorm_mode_32 3
		.amdhsa_float_denorm_mode_16_64 3
		.amdhsa_dx10_clamp 1
		.amdhsa_ieee_mode 1
		.amdhsa_fp16_overflow 0
		.amdhsa_exception_fp_ieee_invalid_op 0
		.amdhsa_exception_fp_denorm_src 0
		.amdhsa_exception_fp_ieee_div_zero 0
		.amdhsa_exception_fp_ieee_overflow 0
		.amdhsa_exception_fp_ieee_underflow 0
		.amdhsa_exception_fp_ieee_inexact 0
		.amdhsa_exception_int_div_zero 0
	.end_amdhsa_kernel
	.section	.text._ZL40rocblas_copy_triangular_syrk_herk_kernelILb1ELb0ELb0E19rocblas_complex_numIfEPS1_Li16ELi16EEviT3_ilPT2_i,"axG",@progbits,_ZL40rocblas_copy_triangular_syrk_herk_kernelILb1ELb0ELb0E19rocblas_complex_numIfEPS1_Li16ELi16EEviT3_ilPT2_i,comdat
.Lfunc_end9:
	.size	_ZL40rocblas_copy_triangular_syrk_herk_kernelILb1ELb0ELb0E19rocblas_complex_numIfEPS1_Li16ELi16EEviT3_ilPT2_i, .Lfunc_end9-_ZL40rocblas_copy_triangular_syrk_herk_kernelILb1ELb0ELb0E19rocblas_complex_numIfEPS1_Li16ELi16EEviT3_ilPT2_i
                                        ; -- End function
	.set _ZL40rocblas_copy_triangular_syrk_herk_kernelILb1ELb0ELb0E19rocblas_complex_numIfEPS1_Li16ELi16EEviT3_ilPT2_i.num_vgpr, 7
	.set _ZL40rocblas_copy_triangular_syrk_herk_kernelILb1ELb0ELb0E19rocblas_complex_numIfEPS1_Li16ELi16EEviT3_ilPT2_i.num_agpr, 0
	.set _ZL40rocblas_copy_triangular_syrk_herk_kernelILb1ELb0ELb0E19rocblas_complex_numIfEPS1_Li16ELi16EEviT3_ilPT2_i.numbered_sgpr, 16
	.set _ZL40rocblas_copy_triangular_syrk_herk_kernelILb1ELb0ELb0E19rocblas_complex_numIfEPS1_Li16ELi16EEviT3_ilPT2_i.num_named_barrier, 0
	.set _ZL40rocblas_copy_triangular_syrk_herk_kernelILb1ELb0ELb0E19rocblas_complex_numIfEPS1_Li16ELi16EEviT3_ilPT2_i.private_seg_size, 0
	.set _ZL40rocblas_copy_triangular_syrk_herk_kernelILb1ELb0ELb0E19rocblas_complex_numIfEPS1_Li16ELi16EEviT3_ilPT2_i.uses_vcc, 1
	.set _ZL40rocblas_copy_triangular_syrk_herk_kernelILb1ELb0ELb0E19rocblas_complex_numIfEPS1_Li16ELi16EEviT3_ilPT2_i.uses_flat_scratch, 0
	.set _ZL40rocblas_copy_triangular_syrk_herk_kernelILb1ELb0ELb0E19rocblas_complex_numIfEPS1_Li16ELi16EEviT3_ilPT2_i.has_dyn_sized_stack, 0
	.set _ZL40rocblas_copy_triangular_syrk_herk_kernelILb1ELb0ELb0E19rocblas_complex_numIfEPS1_Li16ELi16EEviT3_ilPT2_i.has_recursion, 0
	.set _ZL40rocblas_copy_triangular_syrk_herk_kernelILb1ELb0ELb0E19rocblas_complex_numIfEPS1_Li16ELi16EEviT3_ilPT2_i.has_indirect_call, 0
	.section	.AMDGPU.csdata,"",@progbits
; Kernel info:
; codeLenInByte = 324
; TotalNumSgprs: 20
; NumVgprs: 7
; ScratchSize: 0
; MemoryBound: 0
; FloatMode: 240
; IeeeMode: 1
; LDSByteSize: 0 bytes/workgroup (compile time only)
; SGPRBlocks: 2
; VGPRBlocks: 1
; NumSGPRsForWavesPerEU: 20
; NumVGPRsForWavesPerEU: 7
; Occupancy: 10
; WaveLimiterHint : 0
; COMPUTE_PGM_RSRC2:SCRATCH_EN: 0
; COMPUTE_PGM_RSRC2:USER_SGPR: 6
; COMPUTE_PGM_RSRC2:TRAP_HANDLER: 0
; COMPUTE_PGM_RSRC2:TGID_X_EN: 1
; COMPUTE_PGM_RSRC2:TGID_Y_EN: 1
; COMPUTE_PGM_RSRC2:TGID_Z_EN: 1
; COMPUTE_PGM_RSRC2:TIDIG_COMP_CNT: 1
	.section	.text._ZL40rocblas_copy_triangular_syrk_herk_kernelILb0ELb1ELb0E19rocblas_complex_numIfEPS1_Li16ELi16EEviT3_ilPT2_i,"axG",@progbits,_ZL40rocblas_copy_triangular_syrk_herk_kernelILb0ELb1ELb0E19rocblas_complex_numIfEPS1_Li16ELi16EEviT3_ilPT2_i,comdat
	.globl	_ZL40rocblas_copy_triangular_syrk_herk_kernelILb0ELb1ELb0E19rocblas_complex_numIfEPS1_Li16ELi16EEviT3_ilPT2_i ; -- Begin function _ZL40rocblas_copy_triangular_syrk_herk_kernelILb0ELb1ELb0E19rocblas_complex_numIfEPS1_Li16ELi16EEviT3_ilPT2_i
	.p2align	8
	.type	_ZL40rocblas_copy_triangular_syrk_herk_kernelILb0ELb1ELb0E19rocblas_complex_numIfEPS1_Li16ELi16EEviT3_ilPT2_i,@function
_ZL40rocblas_copy_triangular_syrk_herk_kernelILb0ELb1ELb0E19rocblas_complex_numIfEPS1_Li16ELi16EEviT3_ilPT2_i: ; @_ZL40rocblas_copy_triangular_syrk_herk_kernelILb0ELb1ELb0E19rocblas_complex_numIfEPS1_Li16ELi16EEviT3_ilPT2_i
; %bb.0:
	s_load_dword s0, s[4:5], 0x3c
	s_load_dword s9, s[4:5], 0x0
	s_waitcnt lgkmcnt(0)
	s_lshr_b32 s1, s0, 16
	s_and_b32 s0, s0, 0xffff
	s_mul_i32 s7, s7, s1
	s_mul_i32 s6, s6, s0
	v_add_u32_e32 v1, s7, v1
	v_add_u32_e32 v0, s6, v0
	v_max_i32_e32 v2, v1, v0
	v_cmp_gt_i32_e32 vcc, s9, v2
	v_cmp_gt_i32_e64 s[0:1], v1, v0
	s_and_b64 s[0:1], s[0:1], vcc
	s_and_saveexec_b64 s[2:3], s[0:1]
	s_cbranch_execz .LBB10_2
; %bb.1:
	v_add_u32_e32 v2, -1, v1
	s_add_i32 s6, s9, -1
	v_mul_lo_u32 v2, v2, v1
	s_mul_hi_i32 s7, s6, s9
	s_mul_i32 s6, s6, s9
	s_lshr_b32 s9, s7, 31
	s_add_u32 s6, s6, s9
	s_load_dwordx4 s[0:3], s[4:5], 0x18
	s_addc_u32 s7, s7, 0
	v_lshrrev_b32_e32 v3, 31, v2
	s_ashr_i64 s[6:7], s[6:7], 1
	v_add_u32_e32 v2, v2, v3
	s_mul_i32 s7, s7, s8
	s_mul_hi_u32 s9, s6, s8
	v_ashrrev_i32_e32 v2, 1, v2
	s_add_i32 s7, s9, s7
	s_mul_i32 s6, s6, s8
	v_add_u32_e32 v2, v2, v0
	s_lshl_b64 s[6:7], s[6:7], 3
	v_ashrrev_i32_e32 v3, 31, v2
	s_waitcnt lgkmcnt(0)
	s_add_u32 s2, s2, s6
	v_lshlrev_b64 v[2:3], 3, v[2:3]
	s_addc_u32 s3, s3, s7
	v_mov_b32_e32 v4, s3
	v_add_co_u32_e32 v2, vcc, s2, v2
	v_addc_co_u32_e32 v3, vcc, v4, v3, vcc
	global_load_dwordx2 v[3:4], v[2:3], off
	s_load_dwordx2 s[2:3], s[4:5], 0x8
	s_load_dword s6, s[4:5], 0x10
	s_mul_i32 s1, s1, s8
	s_mul_hi_u32 s4, s0, s8
	s_add_i32 s1, s4, s1
	s_mul_i32 s0, s0, s8
	s_waitcnt lgkmcnt(0)
	v_mad_i64_i32 v[5:6], s[4:5], v0, s6, 0
	s_lshl_b64 s[0:1], s[0:1], 3
	s_add_u32 s0, s2, s0
	v_lshlrev_b64 v[5:6], 3, v[5:6]
	s_addc_u32 s1, s3, s1
	v_ashrrev_i32_e32 v2, 31, v1
	v_mov_b32_e32 v0, s1
	v_add_co_u32_e32 v5, vcc, s0, v5
	v_addc_co_u32_e32 v6, vcc, v0, v6, vcc
	v_lshlrev_b64 v[0:1], 3, v[1:2]
	v_add_co_u32_e32 v0, vcc, v5, v0
	v_addc_co_u32_e32 v1, vcc, v6, v1, vcc
	s_waitcnt vmcnt(0)
	global_store_dwordx2 v[0:1], v[3:4], off
.LBB10_2:
	s_endpgm
	.section	.rodata,"a",@progbits
	.p2align	6, 0x0
	.amdhsa_kernel _ZL40rocblas_copy_triangular_syrk_herk_kernelILb0ELb1ELb0E19rocblas_complex_numIfEPS1_Li16ELi16EEviT3_ilPT2_i
		.amdhsa_group_segment_fixed_size 0
		.amdhsa_private_segment_fixed_size 0
		.amdhsa_kernarg_size 304
		.amdhsa_user_sgpr_count 6
		.amdhsa_user_sgpr_private_segment_buffer 1
		.amdhsa_user_sgpr_dispatch_ptr 0
		.amdhsa_user_sgpr_queue_ptr 0
		.amdhsa_user_sgpr_kernarg_segment_ptr 1
		.amdhsa_user_sgpr_dispatch_id 0
		.amdhsa_user_sgpr_flat_scratch_init 0
		.amdhsa_user_sgpr_private_segment_size 0
		.amdhsa_uses_dynamic_stack 0
		.amdhsa_system_sgpr_private_segment_wavefront_offset 0
		.amdhsa_system_sgpr_workgroup_id_x 1
		.amdhsa_system_sgpr_workgroup_id_y 1
		.amdhsa_system_sgpr_workgroup_id_z 1
		.amdhsa_system_sgpr_workgroup_info 0
		.amdhsa_system_vgpr_workitem_id 1
		.amdhsa_next_free_vgpr 7
		.amdhsa_next_free_sgpr 10
		.amdhsa_reserve_vcc 1
		.amdhsa_reserve_flat_scratch 0
		.amdhsa_float_round_mode_32 0
		.amdhsa_float_round_mode_16_64 0
		.amdhsa_float_denorm_mode_32 3
		.amdhsa_float_denorm_mode_16_64 3
		.amdhsa_dx10_clamp 1
		.amdhsa_ieee_mode 1
		.amdhsa_fp16_overflow 0
		.amdhsa_exception_fp_ieee_invalid_op 0
		.amdhsa_exception_fp_denorm_src 0
		.amdhsa_exception_fp_ieee_div_zero 0
		.amdhsa_exception_fp_ieee_overflow 0
		.amdhsa_exception_fp_ieee_underflow 0
		.amdhsa_exception_fp_ieee_inexact 0
		.amdhsa_exception_int_div_zero 0
	.end_amdhsa_kernel
	.section	.text._ZL40rocblas_copy_triangular_syrk_herk_kernelILb0ELb1ELb0E19rocblas_complex_numIfEPS1_Li16ELi16EEviT3_ilPT2_i,"axG",@progbits,_ZL40rocblas_copy_triangular_syrk_herk_kernelILb0ELb1ELb0E19rocblas_complex_numIfEPS1_Li16ELi16EEviT3_ilPT2_i,comdat
.Lfunc_end10:
	.size	_ZL40rocblas_copy_triangular_syrk_herk_kernelILb0ELb1ELb0E19rocblas_complex_numIfEPS1_Li16ELi16EEviT3_ilPT2_i, .Lfunc_end10-_ZL40rocblas_copy_triangular_syrk_herk_kernelILb0ELb1ELb0E19rocblas_complex_numIfEPS1_Li16ELi16EEviT3_ilPT2_i
                                        ; -- End function
	.set _ZL40rocblas_copy_triangular_syrk_herk_kernelILb0ELb1ELb0E19rocblas_complex_numIfEPS1_Li16ELi16EEviT3_ilPT2_i.num_vgpr, 7
	.set _ZL40rocblas_copy_triangular_syrk_herk_kernelILb0ELb1ELb0E19rocblas_complex_numIfEPS1_Li16ELi16EEviT3_ilPT2_i.num_agpr, 0
	.set _ZL40rocblas_copy_triangular_syrk_herk_kernelILb0ELb1ELb0E19rocblas_complex_numIfEPS1_Li16ELi16EEviT3_ilPT2_i.numbered_sgpr, 10
	.set _ZL40rocblas_copy_triangular_syrk_herk_kernelILb0ELb1ELb0E19rocblas_complex_numIfEPS1_Li16ELi16EEviT3_ilPT2_i.num_named_barrier, 0
	.set _ZL40rocblas_copy_triangular_syrk_herk_kernelILb0ELb1ELb0E19rocblas_complex_numIfEPS1_Li16ELi16EEviT3_ilPT2_i.private_seg_size, 0
	.set _ZL40rocblas_copy_triangular_syrk_herk_kernelILb0ELb1ELb0E19rocblas_complex_numIfEPS1_Li16ELi16EEviT3_ilPT2_i.uses_vcc, 1
	.set _ZL40rocblas_copy_triangular_syrk_herk_kernelILb0ELb1ELb0E19rocblas_complex_numIfEPS1_Li16ELi16EEviT3_ilPT2_i.uses_flat_scratch, 0
	.set _ZL40rocblas_copy_triangular_syrk_herk_kernelILb0ELb1ELb0E19rocblas_complex_numIfEPS1_Li16ELi16EEviT3_ilPT2_i.has_dyn_sized_stack, 0
	.set _ZL40rocblas_copy_triangular_syrk_herk_kernelILb0ELb1ELb0E19rocblas_complex_numIfEPS1_Li16ELi16EEviT3_ilPT2_i.has_recursion, 0
	.set _ZL40rocblas_copy_triangular_syrk_herk_kernelILb0ELb1ELb0E19rocblas_complex_numIfEPS1_Li16ELi16EEviT3_ilPT2_i.has_indirect_call, 0
	.section	.AMDGPU.csdata,"",@progbits
; Kernel info:
; codeLenInByte = 316
; TotalNumSgprs: 14
; NumVgprs: 7
; ScratchSize: 0
; MemoryBound: 0
; FloatMode: 240
; IeeeMode: 1
; LDSByteSize: 0 bytes/workgroup (compile time only)
; SGPRBlocks: 1
; VGPRBlocks: 1
; NumSGPRsForWavesPerEU: 14
; NumVGPRsForWavesPerEU: 7
; Occupancy: 10
; WaveLimiterHint : 0
; COMPUTE_PGM_RSRC2:SCRATCH_EN: 0
; COMPUTE_PGM_RSRC2:USER_SGPR: 6
; COMPUTE_PGM_RSRC2:TRAP_HANDLER: 0
; COMPUTE_PGM_RSRC2:TGID_X_EN: 1
; COMPUTE_PGM_RSRC2:TGID_Y_EN: 1
; COMPUTE_PGM_RSRC2:TGID_Z_EN: 1
; COMPUTE_PGM_RSRC2:TIDIG_COMP_CNT: 1
	.section	.text._ZL40rocblas_copy_triangular_syrk_herk_kernelILb0ELb0ELb0E19rocblas_complex_numIfEPS1_Li16ELi16EEviT3_ilPT2_i,"axG",@progbits,_ZL40rocblas_copy_triangular_syrk_herk_kernelILb0ELb0ELb0E19rocblas_complex_numIfEPS1_Li16ELi16EEviT3_ilPT2_i,comdat
	.globl	_ZL40rocblas_copy_triangular_syrk_herk_kernelILb0ELb0ELb0E19rocblas_complex_numIfEPS1_Li16ELi16EEviT3_ilPT2_i ; -- Begin function _ZL40rocblas_copy_triangular_syrk_herk_kernelILb0ELb0ELb0E19rocblas_complex_numIfEPS1_Li16ELi16EEviT3_ilPT2_i
	.p2align	8
	.type	_ZL40rocblas_copy_triangular_syrk_herk_kernelILb0ELb0ELb0E19rocblas_complex_numIfEPS1_Li16ELi16EEviT3_ilPT2_i,@function
_ZL40rocblas_copy_triangular_syrk_herk_kernelILb0ELb0ELb0E19rocblas_complex_numIfEPS1_Li16ELi16EEviT3_ilPT2_i: ; @_ZL40rocblas_copy_triangular_syrk_herk_kernelILb0ELb0ELb0E19rocblas_complex_numIfEPS1_Li16ELi16EEviT3_ilPT2_i
; %bb.0:
	s_load_dword s0, s[4:5], 0x3c
	s_load_dword s9, s[4:5], 0x0
	s_waitcnt lgkmcnt(0)
	s_lshr_b32 s1, s0, 16
	s_and_b32 s0, s0, 0xffff
	s_mul_i32 s7, s7, s1
	s_mul_i32 s6, s6, s0
	v_add_u32_e32 v1, s7, v1
	v_add_u32_e32 v0, s6, v0
	v_max_i32_e32 v2, v1, v0
	v_cmp_gt_i32_e32 vcc, s9, v2
	v_cmp_lt_i32_e64 s[0:1], v1, v0
	s_and_b64 s[0:1], s[0:1], vcc
	s_and_saveexec_b64 s[2:3], s[0:1]
	s_cbranch_execz .LBB11_2
; %bb.1:
	v_not_b32_e32 v2, v1
	v_lshl_add_u32 v3, s9, 1, v2
	s_add_i32 s6, s9, -1
	v_mul_lo_u32 v3, v3, v1
	s_mul_hi_i32 s7, s6, s9
	s_mul_i32 s6, s6, s9
	s_lshr_b32 s10, s7, 31
	s_add_u32 s6, s6, s10
	s_load_dwordx4 s[0:3], s[4:5], 0x18
	s_addc_u32 s7, s7, 0
	v_lshrrev_b32_e32 v4, 31, v3
	s_ashr_i64 s[6:7], s[6:7], 1
	v_add_u32_e32 v3, v3, v4
	s_mul_i32 s7, s7, s8
	s_mul_hi_u32 s10, s6, s8
	v_ashrrev_i32_e32 v3, 1, v3
	s_add_i32 s7, s10, s7
	s_mul_i32 s6, s6, s8
	v_add3_u32 v2, v0, v2, v3
	s_lshl_b64 s[6:7], s[6:7], 3
	v_ashrrev_i32_e32 v3, 31, v2
	s_waitcnt lgkmcnt(0)
	s_add_u32 s2, s2, s6
	v_lshlrev_b64 v[2:3], 3, v[2:3]
	s_addc_u32 s3, s3, s7
	v_mov_b32_e32 v4, s3
	v_add_co_u32_e32 v2, vcc, s2, v2
	v_addc_co_u32_e32 v3, vcc, v4, v3, vcc
	global_load_dwordx2 v[3:4], v[2:3], off
	s_load_dwordx2 s[2:3], s[4:5], 0x8
	s_load_dword s6, s[4:5], 0x10
	s_mul_i32 s1, s1, s8
	s_mul_hi_u32 s4, s0, s8
	s_add_i32 s1, s4, s1
	s_mul_i32 s0, s0, s8
	s_waitcnt lgkmcnt(0)
	v_mad_i64_i32 v[5:6], s[4:5], v0, s6, 0
	s_lshl_b64 s[0:1], s[0:1], 3
	s_add_u32 s0, s2, s0
	v_lshlrev_b64 v[5:6], 3, v[5:6]
	s_addc_u32 s1, s3, s1
	v_ashrrev_i32_e32 v2, 31, v1
	v_mov_b32_e32 v0, s1
	v_add_co_u32_e32 v5, vcc, s0, v5
	v_addc_co_u32_e32 v6, vcc, v0, v6, vcc
	v_lshlrev_b64 v[0:1], 3, v[1:2]
	v_add_co_u32_e32 v0, vcc, v5, v0
	v_addc_co_u32_e32 v1, vcc, v6, v1, vcc
	s_waitcnt vmcnt(0)
	global_store_dwordx2 v[0:1], v[3:4], off
.LBB11_2:
	s_endpgm
	.section	.rodata,"a",@progbits
	.p2align	6, 0x0
	.amdhsa_kernel _ZL40rocblas_copy_triangular_syrk_herk_kernelILb0ELb0ELb0E19rocblas_complex_numIfEPS1_Li16ELi16EEviT3_ilPT2_i
		.amdhsa_group_segment_fixed_size 0
		.amdhsa_private_segment_fixed_size 0
		.amdhsa_kernarg_size 304
		.amdhsa_user_sgpr_count 6
		.amdhsa_user_sgpr_private_segment_buffer 1
		.amdhsa_user_sgpr_dispatch_ptr 0
		.amdhsa_user_sgpr_queue_ptr 0
		.amdhsa_user_sgpr_kernarg_segment_ptr 1
		.amdhsa_user_sgpr_dispatch_id 0
		.amdhsa_user_sgpr_flat_scratch_init 0
		.amdhsa_user_sgpr_private_segment_size 0
		.amdhsa_uses_dynamic_stack 0
		.amdhsa_system_sgpr_private_segment_wavefront_offset 0
		.amdhsa_system_sgpr_workgroup_id_x 1
		.amdhsa_system_sgpr_workgroup_id_y 1
		.amdhsa_system_sgpr_workgroup_id_z 1
		.amdhsa_system_sgpr_workgroup_info 0
		.amdhsa_system_vgpr_workitem_id 1
		.amdhsa_next_free_vgpr 7
		.amdhsa_next_free_sgpr 11
		.amdhsa_reserve_vcc 1
		.amdhsa_reserve_flat_scratch 0
		.amdhsa_float_round_mode_32 0
		.amdhsa_float_round_mode_16_64 0
		.amdhsa_float_denorm_mode_32 3
		.amdhsa_float_denorm_mode_16_64 3
		.amdhsa_dx10_clamp 1
		.amdhsa_ieee_mode 1
		.amdhsa_fp16_overflow 0
		.amdhsa_exception_fp_ieee_invalid_op 0
		.amdhsa_exception_fp_denorm_src 0
		.amdhsa_exception_fp_ieee_div_zero 0
		.amdhsa_exception_fp_ieee_overflow 0
		.amdhsa_exception_fp_ieee_underflow 0
		.amdhsa_exception_fp_ieee_inexact 0
		.amdhsa_exception_int_div_zero 0
	.end_amdhsa_kernel
	.section	.text._ZL40rocblas_copy_triangular_syrk_herk_kernelILb0ELb0ELb0E19rocblas_complex_numIfEPS1_Li16ELi16EEviT3_ilPT2_i,"axG",@progbits,_ZL40rocblas_copy_triangular_syrk_herk_kernelILb0ELb0ELb0E19rocblas_complex_numIfEPS1_Li16ELi16EEviT3_ilPT2_i,comdat
.Lfunc_end11:
	.size	_ZL40rocblas_copy_triangular_syrk_herk_kernelILb0ELb0ELb0E19rocblas_complex_numIfEPS1_Li16ELi16EEviT3_ilPT2_i, .Lfunc_end11-_ZL40rocblas_copy_triangular_syrk_herk_kernelILb0ELb0ELb0E19rocblas_complex_numIfEPS1_Li16ELi16EEviT3_ilPT2_i
                                        ; -- End function
	.set _ZL40rocblas_copy_triangular_syrk_herk_kernelILb0ELb0ELb0E19rocblas_complex_numIfEPS1_Li16ELi16EEviT3_ilPT2_i.num_vgpr, 7
	.set _ZL40rocblas_copy_triangular_syrk_herk_kernelILb0ELb0ELb0E19rocblas_complex_numIfEPS1_Li16ELi16EEviT3_ilPT2_i.num_agpr, 0
	.set _ZL40rocblas_copy_triangular_syrk_herk_kernelILb0ELb0ELb0E19rocblas_complex_numIfEPS1_Li16ELi16EEviT3_ilPT2_i.numbered_sgpr, 11
	.set _ZL40rocblas_copy_triangular_syrk_herk_kernelILb0ELb0ELb0E19rocblas_complex_numIfEPS1_Li16ELi16EEviT3_ilPT2_i.num_named_barrier, 0
	.set _ZL40rocblas_copy_triangular_syrk_herk_kernelILb0ELb0ELb0E19rocblas_complex_numIfEPS1_Li16ELi16EEviT3_ilPT2_i.private_seg_size, 0
	.set _ZL40rocblas_copy_triangular_syrk_herk_kernelILb0ELb0ELb0E19rocblas_complex_numIfEPS1_Li16ELi16EEviT3_ilPT2_i.uses_vcc, 1
	.set _ZL40rocblas_copy_triangular_syrk_herk_kernelILb0ELb0ELb0E19rocblas_complex_numIfEPS1_Li16ELi16EEviT3_ilPT2_i.uses_flat_scratch, 0
	.set _ZL40rocblas_copy_triangular_syrk_herk_kernelILb0ELb0ELb0E19rocblas_complex_numIfEPS1_Li16ELi16EEviT3_ilPT2_i.has_dyn_sized_stack, 0
	.set _ZL40rocblas_copy_triangular_syrk_herk_kernelILb0ELb0ELb0E19rocblas_complex_numIfEPS1_Li16ELi16EEviT3_ilPT2_i.has_recursion, 0
	.set _ZL40rocblas_copy_triangular_syrk_herk_kernelILb0ELb0ELb0E19rocblas_complex_numIfEPS1_Li16ELi16EEviT3_ilPT2_i.has_indirect_call, 0
	.section	.AMDGPU.csdata,"",@progbits
; Kernel info:
; codeLenInByte = 328
; TotalNumSgprs: 15
; NumVgprs: 7
; ScratchSize: 0
; MemoryBound: 0
; FloatMode: 240
; IeeeMode: 1
; LDSByteSize: 0 bytes/workgroup (compile time only)
; SGPRBlocks: 1
; VGPRBlocks: 1
; NumSGPRsForWavesPerEU: 15
; NumVGPRsForWavesPerEU: 7
; Occupancy: 10
; WaveLimiterHint : 0
; COMPUTE_PGM_RSRC2:SCRATCH_EN: 0
; COMPUTE_PGM_RSRC2:USER_SGPR: 6
; COMPUTE_PGM_RSRC2:TRAP_HANDLER: 0
; COMPUTE_PGM_RSRC2:TGID_X_EN: 1
; COMPUTE_PGM_RSRC2:TGID_Y_EN: 1
; COMPUTE_PGM_RSRC2:TGID_Z_EN: 1
; COMPUTE_PGM_RSRC2:TIDIG_COMP_CNT: 1
	.section	.text._ZL40rocblas_copy_triangular_syrk_herk_kernelILb1ELb1ELb0E19rocblas_complex_numIdEPS1_Li16ELi16EEviT3_ilPT2_i,"axG",@progbits,_ZL40rocblas_copy_triangular_syrk_herk_kernelILb1ELb1ELb0E19rocblas_complex_numIdEPS1_Li16ELi16EEviT3_ilPT2_i,comdat
	.globl	_ZL40rocblas_copy_triangular_syrk_herk_kernelILb1ELb1ELb0E19rocblas_complex_numIdEPS1_Li16ELi16EEviT3_ilPT2_i ; -- Begin function _ZL40rocblas_copy_triangular_syrk_herk_kernelILb1ELb1ELb0E19rocblas_complex_numIdEPS1_Li16ELi16EEviT3_ilPT2_i
	.p2align	8
	.type	_ZL40rocblas_copy_triangular_syrk_herk_kernelILb1ELb1ELb0E19rocblas_complex_numIdEPS1_Li16ELi16EEviT3_ilPT2_i,@function
_ZL40rocblas_copy_triangular_syrk_herk_kernelILb1ELb1ELb0E19rocblas_complex_numIdEPS1_Li16ELi16EEviT3_ilPT2_i: ; @_ZL40rocblas_copy_triangular_syrk_herk_kernelILb1ELb1ELb0E19rocblas_complex_numIdEPS1_Li16ELi16EEviT3_ilPT2_i
; %bb.0:
	s_load_dword s0, s[4:5], 0x3c
	s_load_dword s2, s[4:5], 0x0
	s_waitcnt lgkmcnt(0)
	s_lshr_b32 s1, s0, 16
	s_and_b32 s0, s0, 0xffff
	s_mul_i32 s7, s7, s1
	s_mul_i32 s6, s6, s0
	v_add_u32_e32 v1, s7, v1
	v_add_u32_e32 v0, s6, v0
	v_max_i32_e32 v2, v1, v0
	v_cmp_gt_i32_e32 vcc, s2, v2
	v_cmp_gt_i32_e64 s[0:1], v1, v0
	s_and_b64 s[0:1], s[0:1], vcc
	s_and_saveexec_b64 s[6:7], s[0:1]
	s_cbranch_execz .LBB12_2
; %bb.1:
	s_add_i32 s3, s2, -1
	s_load_dwordx2 s[0:1], s[4:5], 0x8
	s_load_dword s6, s[4:5], 0x10
	s_load_dwordx4 s[12:15], s[4:5], 0x18
	s_mul_hi_i32 s4, s3, s2
	s_mul_i32 s3, s3, s2
	s_lshr_b32 s2, s4, 31
	s_add_u32 s2, s3, s2
	s_addc_u32 s3, s4, 0
	s_ashr_i64 s[2:3], s[2:3], 1
	s_mul_i32 s3, s3, s8
	s_mul_hi_u32 s4, s2, s8
	s_add_i32 s3, s4, s3
	s_mul_i32 s2, s2, s8
	s_lshl_b64 s[2:3], s[2:3], 4
	s_waitcnt lgkmcnt(0)
	s_add_u32 s7, s14, s2
	v_mad_i64_i32 v[3:4], s[4:5], v0, s6, 0
	s_addc_u32 s9, s15, s3
	s_mul_i32 s2, s13, s8
	s_mul_hi_u32 s3, s12, s8
	s_add_i32 s3, s3, s2
	s_mul_i32 s2, s12, s8
	s_lshl_b64 s[2:3], s[2:3], 4
	s_add_u32 s0, s0, s2
	v_lshlrev_b64 v[3:4], 4, v[3:4]
	s_addc_u32 s1, s1, s3
	v_ashrrev_i32_e32 v2, 31, v1
	v_mov_b32_e32 v5, s1
	v_add_co_u32_e32 v6, vcc, s0, v3
	v_lshlrev_b64 v[2:3], 4, v[1:2]
	v_addc_co_u32_e32 v4, vcc, v5, v4, vcc
	v_add_co_u32_e32 v2, vcc, v6, v2
	v_addc_co_u32_e32 v3, vcc, v4, v3, vcc
	global_load_dwordx4 v[2:5], v[2:3], off
	v_add_u32_e32 v6, -1, v1
	v_mul_lo_u32 v1, v6, v1
	v_lshrrev_b32_e32 v6, 31, v1
	v_add_u32_e32 v1, v1, v6
	v_ashrrev_i32_e32 v1, 1, v1
	v_add_u32_e32 v0, v1, v0
	v_ashrrev_i32_e32 v1, 31, v0
	v_lshlrev_b64 v[0:1], 4, v[0:1]
	v_mov_b32_e32 v6, s9
	v_add_co_u32_e32 v0, vcc, s7, v0
	v_addc_co_u32_e32 v1, vcc, v6, v1, vcc
	s_waitcnt vmcnt(0)
	global_store_dwordx4 v[0:1], v[2:5], off
.LBB12_2:
	s_endpgm
	.section	.rodata,"a",@progbits
	.p2align	6, 0x0
	.amdhsa_kernel _ZL40rocblas_copy_triangular_syrk_herk_kernelILb1ELb1ELb0E19rocblas_complex_numIdEPS1_Li16ELi16EEviT3_ilPT2_i
		.amdhsa_group_segment_fixed_size 0
		.amdhsa_private_segment_fixed_size 0
		.amdhsa_kernarg_size 304
		.amdhsa_user_sgpr_count 6
		.amdhsa_user_sgpr_private_segment_buffer 1
		.amdhsa_user_sgpr_dispatch_ptr 0
		.amdhsa_user_sgpr_queue_ptr 0
		.amdhsa_user_sgpr_kernarg_segment_ptr 1
		.amdhsa_user_sgpr_dispatch_id 0
		.amdhsa_user_sgpr_flat_scratch_init 0
		.amdhsa_user_sgpr_private_segment_size 0
		.amdhsa_uses_dynamic_stack 0
		.amdhsa_system_sgpr_private_segment_wavefront_offset 0
		.amdhsa_system_sgpr_workgroup_id_x 1
		.amdhsa_system_sgpr_workgroup_id_y 1
		.amdhsa_system_sgpr_workgroup_id_z 1
		.amdhsa_system_sgpr_workgroup_info 0
		.amdhsa_system_vgpr_workitem_id 1
		.amdhsa_next_free_vgpr 7
		.amdhsa_next_free_sgpr 16
		.amdhsa_reserve_vcc 1
		.amdhsa_reserve_flat_scratch 0
		.amdhsa_float_round_mode_32 0
		.amdhsa_float_round_mode_16_64 0
		.amdhsa_float_denorm_mode_32 3
		.amdhsa_float_denorm_mode_16_64 3
		.amdhsa_dx10_clamp 1
		.amdhsa_ieee_mode 1
		.amdhsa_fp16_overflow 0
		.amdhsa_exception_fp_ieee_invalid_op 0
		.amdhsa_exception_fp_denorm_src 0
		.amdhsa_exception_fp_ieee_div_zero 0
		.amdhsa_exception_fp_ieee_overflow 0
		.amdhsa_exception_fp_ieee_underflow 0
		.amdhsa_exception_fp_ieee_inexact 0
		.amdhsa_exception_int_div_zero 0
	.end_amdhsa_kernel
	.section	.text._ZL40rocblas_copy_triangular_syrk_herk_kernelILb1ELb1ELb0E19rocblas_complex_numIdEPS1_Li16ELi16EEviT3_ilPT2_i,"axG",@progbits,_ZL40rocblas_copy_triangular_syrk_herk_kernelILb1ELb1ELb0E19rocblas_complex_numIdEPS1_Li16ELi16EEviT3_ilPT2_i,comdat
.Lfunc_end12:
	.size	_ZL40rocblas_copy_triangular_syrk_herk_kernelILb1ELb1ELb0E19rocblas_complex_numIdEPS1_Li16ELi16EEviT3_ilPT2_i, .Lfunc_end12-_ZL40rocblas_copy_triangular_syrk_herk_kernelILb1ELb1ELb0E19rocblas_complex_numIdEPS1_Li16ELi16EEviT3_ilPT2_i
                                        ; -- End function
	.set _ZL40rocblas_copy_triangular_syrk_herk_kernelILb1ELb1ELb0E19rocblas_complex_numIdEPS1_Li16ELi16EEviT3_ilPT2_i.num_vgpr, 7
	.set _ZL40rocblas_copy_triangular_syrk_herk_kernelILb1ELb1ELb0E19rocblas_complex_numIdEPS1_Li16ELi16EEviT3_ilPT2_i.num_agpr, 0
	.set _ZL40rocblas_copy_triangular_syrk_herk_kernelILb1ELb1ELb0E19rocblas_complex_numIdEPS1_Li16ELi16EEviT3_ilPT2_i.numbered_sgpr, 16
	.set _ZL40rocblas_copy_triangular_syrk_herk_kernelILb1ELb1ELb0E19rocblas_complex_numIdEPS1_Li16ELi16EEviT3_ilPT2_i.num_named_barrier, 0
	.set _ZL40rocblas_copy_triangular_syrk_herk_kernelILb1ELb1ELb0E19rocblas_complex_numIdEPS1_Li16ELi16EEviT3_ilPT2_i.private_seg_size, 0
	.set _ZL40rocblas_copy_triangular_syrk_herk_kernelILb1ELb1ELb0E19rocblas_complex_numIdEPS1_Li16ELi16EEviT3_ilPT2_i.uses_vcc, 1
	.set _ZL40rocblas_copy_triangular_syrk_herk_kernelILb1ELb1ELb0E19rocblas_complex_numIdEPS1_Li16ELi16EEviT3_ilPT2_i.uses_flat_scratch, 0
	.set _ZL40rocblas_copy_triangular_syrk_herk_kernelILb1ELb1ELb0E19rocblas_complex_numIdEPS1_Li16ELi16EEviT3_ilPT2_i.has_dyn_sized_stack, 0
	.set _ZL40rocblas_copy_triangular_syrk_herk_kernelILb1ELb1ELb0E19rocblas_complex_numIdEPS1_Li16ELi16EEviT3_ilPT2_i.has_recursion, 0
	.set _ZL40rocblas_copy_triangular_syrk_herk_kernelILb1ELb1ELb0E19rocblas_complex_numIdEPS1_Li16ELi16EEviT3_ilPT2_i.has_indirect_call, 0
	.section	.AMDGPU.csdata,"",@progbits
; Kernel info:
; codeLenInByte = 312
; TotalNumSgprs: 20
; NumVgprs: 7
; ScratchSize: 0
; MemoryBound: 0
; FloatMode: 240
; IeeeMode: 1
; LDSByteSize: 0 bytes/workgroup (compile time only)
; SGPRBlocks: 2
; VGPRBlocks: 1
; NumSGPRsForWavesPerEU: 20
; NumVGPRsForWavesPerEU: 7
; Occupancy: 10
; WaveLimiterHint : 0
; COMPUTE_PGM_RSRC2:SCRATCH_EN: 0
; COMPUTE_PGM_RSRC2:USER_SGPR: 6
; COMPUTE_PGM_RSRC2:TRAP_HANDLER: 0
; COMPUTE_PGM_RSRC2:TGID_X_EN: 1
; COMPUTE_PGM_RSRC2:TGID_Y_EN: 1
; COMPUTE_PGM_RSRC2:TGID_Z_EN: 1
; COMPUTE_PGM_RSRC2:TIDIG_COMP_CNT: 1
	.section	.text._ZL40rocblas_copy_triangular_syrk_herk_kernelILb1ELb0ELb0E19rocblas_complex_numIdEPS1_Li16ELi16EEviT3_ilPT2_i,"axG",@progbits,_ZL40rocblas_copy_triangular_syrk_herk_kernelILb1ELb0ELb0E19rocblas_complex_numIdEPS1_Li16ELi16EEviT3_ilPT2_i,comdat
	.globl	_ZL40rocblas_copy_triangular_syrk_herk_kernelILb1ELb0ELb0E19rocblas_complex_numIdEPS1_Li16ELi16EEviT3_ilPT2_i ; -- Begin function _ZL40rocblas_copy_triangular_syrk_herk_kernelILb1ELb0ELb0E19rocblas_complex_numIdEPS1_Li16ELi16EEviT3_ilPT2_i
	.p2align	8
	.type	_ZL40rocblas_copy_triangular_syrk_herk_kernelILb1ELb0ELb0E19rocblas_complex_numIdEPS1_Li16ELi16EEviT3_ilPT2_i,@function
_ZL40rocblas_copy_triangular_syrk_herk_kernelILb1ELb0ELb0E19rocblas_complex_numIdEPS1_Li16ELi16EEviT3_ilPT2_i: ; @_ZL40rocblas_copy_triangular_syrk_herk_kernelILb1ELb0ELb0E19rocblas_complex_numIdEPS1_Li16ELi16EEviT3_ilPT2_i
; %bb.0:
	s_load_dword s0, s[4:5], 0x3c
	s_load_dword s2, s[4:5], 0x0
	s_waitcnt lgkmcnt(0)
	s_lshr_b32 s1, s0, 16
	s_and_b32 s0, s0, 0xffff
	s_mul_i32 s7, s7, s1
	s_mul_i32 s6, s6, s0
	v_add_u32_e32 v1, s7, v1
	v_add_u32_e32 v0, s6, v0
	v_max_i32_e32 v2, v1, v0
	v_cmp_gt_i32_e32 vcc, s2, v2
	v_cmp_lt_i32_e64 s[0:1], v1, v0
	s_and_b64 s[0:1], s[0:1], vcc
	s_and_saveexec_b64 s[6:7], s[0:1]
	s_cbranch_execz .LBB13_2
; %bb.1:
	s_load_dwordx2 s[0:1], s[4:5], 0x8
	s_load_dword s3, s[4:5], 0x10
	s_load_dwordx4 s[12:15], s[4:5], 0x18
	s_add_i32 s4, s2, -1
	s_mul_hi_i32 s5, s4, s2
	s_mul_i32 s4, s4, s2
	s_lshr_b32 s6, s5, 31
	s_add_u32 s4, s4, s6
	s_addc_u32 s5, s5, 0
	s_ashr_i64 s[4:5], s[4:5], 1
	s_mul_i32 s5, s5, s8
	s_mul_hi_u32 s6, s4, s8
	s_add_i32 s5, s6, s5
	s_mul_i32 s4, s4, s8
	s_lshl_b64 s[4:5], s[4:5], 4
	s_waitcnt lgkmcnt(0)
	s_add_u32 s9, s14, s4
	v_mad_i64_i32 v[3:4], s[6:7], v0, s3, 0
	s_addc_u32 s10, s15, s5
	s_mul_i32 s4, s13, s8
	s_mul_hi_u32 s5, s12, s8
	s_add_i32 s5, s5, s4
	s_mul_i32 s4, s12, s8
	s_lshl_b64 s[4:5], s[4:5], 4
	s_add_u32 s0, s0, s4
	v_lshlrev_b64 v[3:4], 4, v[3:4]
	s_addc_u32 s1, s1, s5
	v_ashrrev_i32_e32 v2, 31, v1
	v_mov_b32_e32 v5, s1
	v_add_co_u32_e32 v6, vcc, s0, v3
	v_lshlrev_b64 v[2:3], 4, v[1:2]
	v_addc_co_u32_e32 v4, vcc, v5, v4, vcc
	v_add_co_u32_e32 v2, vcc, v6, v2
	v_addc_co_u32_e32 v3, vcc, v4, v3, vcc
	global_load_dwordx4 v[2:5], v[2:3], off
	v_not_b32_e32 v6, v1
	v_lshl_add_u32 v7, s2, 1, v6
	v_mul_lo_u32 v1, v7, v1
	v_lshrrev_b32_e32 v7, 31, v1
	v_add_u32_e32 v1, v1, v7
	v_ashrrev_i32_e32 v1, 1, v1
	v_add3_u32 v0, v0, v6, v1
	v_ashrrev_i32_e32 v1, 31, v0
	v_lshlrev_b64 v[0:1], 4, v[0:1]
	v_mov_b32_e32 v6, s10
	v_add_co_u32_e32 v0, vcc, s9, v0
	v_addc_co_u32_e32 v1, vcc, v6, v1, vcc
	s_waitcnt vmcnt(0)
	global_store_dwordx4 v[0:1], v[2:5], off
.LBB13_2:
	s_endpgm
	.section	.rodata,"a",@progbits
	.p2align	6, 0x0
	.amdhsa_kernel _ZL40rocblas_copy_triangular_syrk_herk_kernelILb1ELb0ELb0E19rocblas_complex_numIdEPS1_Li16ELi16EEviT3_ilPT2_i
		.amdhsa_group_segment_fixed_size 0
		.amdhsa_private_segment_fixed_size 0
		.amdhsa_kernarg_size 304
		.amdhsa_user_sgpr_count 6
		.amdhsa_user_sgpr_private_segment_buffer 1
		.amdhsa_user_sgpr_dispatch_ptr 0
		.amdhsa_user_sgpr_queue_ptr 0
		.amdhsa_user_sgpr_kernarg_segment_ptr 1
		.amdhsa_user_sgpr_dispatch_id 0
		.amdhsa_user_sgpr_flat_scratch_init 0
		.amdhsa_user_sgpr_private_segment_size 0
		.amdhsa_uses_dynamic_stack 0
		.amdhsa_system_sgpr_private_segment_wavefront_offset 0
		.amdhsa_system_sgpr_workgroup_id_x 1
		.amdhsa_system_sgpr_workgroup_id_y 1
		.amdhsa_system_sgpr_workgroup_id_z 1
		.amdhsa_system_sgpr_workgroup_info 0
		.amdhsa_system_vgpr_workitem_id 1
		.amdhsa_next_free_vgpr 8
		.amdhsa_next_free_sgpr 16
		.amdhsa_reserve_vcc 1
		.amdhsa_reserve_flat_scratch 0
		.amdhsa_float_round_mode_32 0
		.amdhsa_float_round_mode_16_64 0
		.amdhsa_float_denorm_mode_32 3
		.amdhsa_float_denorm_mode_16_64 3
		.amdhsa_dx10_clamp 1
		.amdhsa_ieee_mode 1
		.amdhsa_fp16_overflow 0
		.amdhsa_exception_fp_ieee_invalid_op 0
		.amdhsa_exception_fp_denorm_src 0
		.amdhsa_exception_fp_ieee_div_zero 0
		.amdhsa_exception_fp_ieee_overflow 0
		.amdhsa_exception_fp_ieee_underflow 0
		.amdhsa_exception_fp_ieee_inexact 0
		.amdhsa_exception_int_div_zero 0
	.end_amdhsa_kernel
	.section	.text._ZL40rocblas_copy_triangular_syrk_herk_kernelILb1ELb0ELb0E19rocblas_complex_numIdEPS1_Li16ELi16EEviT3_ilPT2_i,"axG",@progbits,_ZL40rocblas_copy_triangular_syrk_herk_kernelILb1ELb0ELb0E19rocblas_complex_numIdEPS1_Li16ELi16EEviT3_ilPT2_i,comdat
.Lfunc_end13:
	.size	_ZL40rocblas_copy_triangular_syrk_herk_kernelILb1ELb0ELb0E19rocblas_complex_numIdEPS1_Li16ELi16EEviT3_ilPT2_i, .Lfunc_end13-_ZL40rocblas_copy_triangular_syrk_herk_kernelILb1ELb0ELb0E19rocblas_complex_numIdEPS1_Li16ELi16EEviT3_ilPT2_i
                                        ; -- End function
	.set _ZL40rocblas_copy_triangular_syrk_herk_kernelILb1ELb0ELb0E19rocblas_complex_numIdEPS1_Li16ELi16EEviT3_ilPT2_i.num_vgpr, 8
	.set _ZL40rocblas_copy_triangular_syrk_herk_kernelILb1ELb0ELb0E19rocblas_complex_numIdEPS1_Li16ELi16EEviT3_ilPT2_i.num_agpr, 0
	.set _ZL40rocblas_copy_triangular_syrk_herk_kernelILb1ELb0ELb0E19rocblas_complex_numIdEPS1_Li16ELi16EEviT3_ilPT2_i.numbered_sgpr, 16
	.set _ZL40rocblas_copy_triangular_syrk_herk_kernelILb1ELb0ELb0E19rocblas_complex_numIdEPS1_Li16ELi16EEviT3_ilPT2_i.num_named_barrier, 0
	.set _ZL40rocblas_copy_triangular_syrk_herk_kernelILb1ELb0ELb0E19rocblas_complex_numIdEPS1_Li16ELi16EEviT3_ilPT2_i.private_seg_size, 0
	.set _ZL40rocblas_copy_triangular_syrk_herk_kernelILb1ELb0ELb0E19rocblas_complex_numIdEPS1_Li16ELi16EEviT3_ilPT2_i.uses_vcc, 1
	.set _ZL40rocblas_copy_triangular_syrk_herk_kernelILb1ELb0ELb0E19rocblas_complex_numIdEPS1_Li16ELi16EEviT3_ilPT2_i.uses_flat_scratch, 0
	.set _ZL40rocblas_copy_triangular_syrk_herk_kernelILb1ELb0ELb0E19rocblas_complex_numIdEPS1_Li16ELi16EEviT3_ilPT2_i.has_dyn_sized_stack, 0
	.set _ZL40rocblas_copy_triangular_syrk_herk_kernelILb1ELb0ELb0E19rocblas_complex_numIdEPS1_Li16ELi16EEviT3_ilPT2_i.has_recursion, 0
	.set _ZL40rocblas_copy_triangular_syrk_herk_kernelILb1ELb0ELb0E19rocblas_complex_numIdEPS1_Li16ELi16EEviT3_ilPT2_i.has_indirect_call, 0
	.section	.AMDGPU.csdata,"",@progbits
; Kernel info:
; codeLenInByte = 324
; TotalNumSgprs: 20
; NumVgprs: 8
; ScratchSize: 0
; MemoryBound: 0
; FloatMode: 240
; IeeeMode: 1
; LDSByteSize: 0 bytes/workgroup (compile time only)
; SGPRBlocks: 2
; VGPRBlocks: 1
; NumSGPRsForWavesPerEU: 20
; NumVGPRsForWavesPerEU: 8
; Occupancy: 10
; WaveLimiterHint : 0
; COMPUTE_PGM_RSRC2:SCRATCH_EN: 0
; COMPUTE_PGM_RSRC2:USER_SGPR: 6
; COMPUTE_PGM_RSRC2:TRAP_HANDLER: 0
; COMPUTE_PGM_RSRC2:TGID_X_EN: 1
; COMPUTE_PGM_RSRC2:TGID_Y_EN: 1
; COMPUTE_PGM_RSRC2:TGID_Z_EN: 1
; COMPUTE_PGM_RSRC2:TIDIG_COMP_CNT: 1
	.section	.text._ZL40rocblas_copy_triangular_syrk_herk_kernelILb0ELb1ELb0E19rocblas_complex_numIdEPS1_Li16ELi16EEviT3_ilPT2_i,"axG",@progbits,_ZL40rocblas_copy_triangular_syrk_herk_kernelILb0ELb1ELb0E19rocblas_complex_numIdEPS1_Li16ELi16EEviT3_ilPT2_i,comdat
	.globl	_ZL40rocblas_copy_triangular_syrk_herk_kernelILb0ELb1ELb0E19rocblas_complex_numIdEPS1_Li16ELi16EEviT3_ilPT2_i ; -- Begin function _ZL40rocblas_copy_triangular_syrk_herk_kernelILb0ELb1ELb0E19rocblas_complex_numIdEPS1_Li16ELi16EEviT3_ilPT2_i
	.p2align	8
	.type	_ZL40rocblas_copy_triangular_syrk_herk_kernelILb0ELb1ELb0E19rocblas_complex_numIdEPS1_Li16ELi16EEviT3_ilPT2_i,@function
_ZL40rocblas_copy_triangular_syrk_herk_kernelILb0ELb1ELb0E19rocblas_complex_numIdEPS1_Li16ELi16EEviT3_ilPT2_i: ; @_ZL40rocblas_copy_triangular_syrk_herk_kernelILb0ELb1ELb0E19rocblas_complex_numIdEPS1_Li16ELi16EEviT3_ilPT2_i
; %bb.0:
	s_load_dword s0, s[4:5], 0x3c
	s_load_dword s9, s[4:5], 0x0
	s_waitcnt lgkmcnt(0)
	s_lshr_b32 s1, s0, 16
	s_and_b32 s0, s0, 0xffff
	s_mul_i32 s7, s7, s1
	s_mul_i32 s6, s6, s0
	v_add_u32_e32 v1, s7, v1
	v_add_u32_e32 v0, s6, v0
	v_max_i32_e32 v2, v1, v0
	v_cmp_gt_i32_e32 vcc, s9, v2
	v_cmp_gt_i32_e64 s[0:1], v1, v0
	s_and_b64 s[0:1], s[0:1], vcc
	s_and_saveexec_b64 s[2:3], s[0:1]
	s_cbranch_execz .LBB14_2
; %bb.1:
	v_add_u32_e32 v2, -1, v1
	s_add_i32 s6, s9, -1
	v_mul_lo_u32 v2, v2, v1
	s_mul_hi_i32 s7, s6, s9
	s_mul_i32 s6, s6, s9
	s_lshr_b32 s9, s7, 31
	s_add_u32 s6, s6, s9
	s_load_dwordx4 s[0:3], s[4:5], 0x18
	s_addc_u32 s7, s7, 0
	v_lshrrev_b32_e32 v3, 31, v2
	s_ashr_i64 s[6:7], s[6:7], 1
	v_add_u32_e32 v2, v2, v3
	s_mul_i32 s7, s7, s8
	s_mul_hi_u32 s9, s6, s8
	v_ashrrev_i32_e32 v2, 1, v2
	s_add_i32 s7, s9, s7
	s_mul_i32 s6, s6, s8
	v_add_u32_e32 v2, v2, v0
	s_lshl_b64 s[6:7], s[6:7], 4
	v_ashrrev_i32_e32 v3, 31, v2
	s_waitcnt lgkmcnt(0)
	s_add_u32 s2, s2, s6
	v_lshlrev_b64 v[2:3], 4, v[2:3]
	s_addc_u32 s3, s3, s7
	v_mov_b32_e32 v4, s3
	v_add_co_u32_e32 v2, vcc, s2, v2
	v_addc_co_u32_e32 v3, vcc, v4, v3, vcc
	global_load_dwordx4 v[3:6], v[2:3], off
	s_load_dwordx2 s[2:3], s[4:5], 0x8
	s_load_dword s6, s[4:5], 0x10
	s_mul_i32 s1, s1, s8
	s_mul_hi_u32 s4, s0, s8
	s_add_i32 s1, s4, s1
	s_mul_i32 s0, s0, s8
	s_waitcnt lgkmcnt(0)
	v_mad_i64_i32 v[7:8], s[4:5], v0, s6, 0
	s_lshl_b64 s[0:1], s[0:1], 4
	s_add_u32 s0, s2, s0
	v_lshlrev_b64 v[7:8], 4, v[7:8]
	s_addc_u32 s1, s3, s1
	v_ashrrev_i32_e32 v2, 31, v1
	v_mov_b32_e32 v0, s1
	v_add_co_u32_e32 v7, vcc, s0, v7
	v_addc_co_u32_e32 v8, vcc, v0, v8, vcc
	v_lshlrev_b64 v[0:1], 4, v[1:2]
	v_add_co_u32_e32 v0, vcc, v7, v0
	v_addc_co_u32_e32 v1, vcc, v8, v1, vcc
	s_waitcnt vmcnt(0)
	global_store_dwordx4 v[0:1], v[3:6], off
.LBB14_2:
	s_endpgm
	.section	.rodata,"a",@progbits
	.p2align	6, 0x0
	.amdhsa_kernel _ZL40rocblas_copy_triangular_syrk_herk_kernelILb0ELb1ELb0E19rocblas_complex_numIdEPS1_Li16ELi16EEviT3_ilPT2_i
		.amdhsa_group_segment_fixed_size 0
		.amdhsa_private_segment_fixed_size 0
		.amdhsa_kernarg_size 304
		.amdhsa_user_sgpr_count 6
		.amdhsa_user_sgpr_private_segment_buffer 1
		.amdhsa_user_sgpr_dispatch_ptr 0
		.amdhsa_user_sgpr_queue_ptr 0
		.amdhsa_user_sgpr_kernarg_segment_ptr 1
		.amdhsa_user_sgpr_dispatch_id 0
		.amdhsa_user_sgpr_flat_scratch_init 0
		.amdhsa_user_sgpr_private_segment_size 0
		.amdhsa_uses_dynamic_stack 0
		.amdhsa_system_sgpr_private_segment_wavefront_offset 0
		.amdhsa_system_sgpr_workgroup_id_x 1
		.amdhsa_system_sgpr_workgroup_id_y 1
		.amdhsa_system_sgpr_workgroup_id_z 1
		.amdhsa_system_sgpr_workgroup_info 0
		.amdhsa_system_vgpr_workitem_id 1
		.amdhsa_next_free_vgpr 9
		.amdhsa_next_free_sgpr 10
		.amdhsa_reserve_vcc 1
		.amdhsa_reserve_flat_scratch 0
		.amdhsa_float_round_mode_32 0
		.amdhsa_float_round_mode_16_64 0
		.amdhsa_float_denorm_mode_32 3
		.amdhsa_float_denorm_mode_16_64 3
		.amdhsa_dx10_clamp 1
		.amdhsa_ieee_mode 1
		.amdhsa_fp16_overflow 0
		.amdhsa_exception_fp_ieee_invalid_op 0
		.amdhsa_exception_fp_denorm_src 0
		.amdhsa_exception_fp_ieee_div_zero 0
		.amdhsa_exception_fp_ieee_overflow 0
		.amdhsa_exception_fp_ieee_underflow 0
		.amdhsa_exception_fp_ieee_inexact 0
		.amdhsa_exception_int_div_zero 0
	.end_amdhsa_kernel
	.section	.text._ZL40rocblas_copy_triangular_syrk_herk_kernelILb0ELb1ELb0E19rocblas_complex_numIdEPS1_Li16ELi16EEviT3_ilPT2_i,"axG",@progbits,_ZL40rocblas_copy_triangular_syrk_herk_kernelILb0ELb1ELb0E19rocblas_complex_numIdEPS1_Li16ELi16EEviT3_ilPT2_i,comdat
.Lfunc_end14:
	.size	_ZL40rocblas_copy_triangular_syrk_herk_kernelILb0ELb1ELb0E19rocblas_complex_numIdEPS1_Li16ELi16EEviT3_ilPT2_i, .Lfunc_end14-_ZL40rocblas_copy_triangular_syrk_herk_kernelILb0ELb1ELb0E19rocblas_complex_numIdEPS1_Li16ELi16EEviT3_ilPT2_i
                                        ; -- End function
	.set _ZL40rocblas_copy_triangular_syrk_herk_kernelILb0ELb1ELb0E19rocblas_complex_numIdEPS1_Li16ELi16EEviT3_ilPT2_i.num_vgpr, 9
	.set _ZL40rocblas_copy_triangular_syrk_herk_kernelILb0ELb1ELb0E19rocblas_complex_numIdEPS1_Li16ELi16EEviT3_ilPT2_i.num_agpr, 0
	.set _ZL40rocblas_copy_triangular_syrk_herk_kernelILb0ELb1ELb0E19rocblas_complex_numIdEPS1_Li16ELi16EEviT3_ilPT2_i.numbered_sgpr, 10
	.set _ZL40rocblas_copy_triangular_syrk_herk_kernelILb0ELb1ELb0E19rocblas_complex_numIdEPS1_Li16ELi16EEviT3_ilPT2_i.num_named_barrier, 0
	.set _ZL40rocblas_copy_triangular_syrk_herk_kernelILb0ELb1ELb0E19rocblas_complex_numIdEPS1_Li16ELi16EEviT3_ilPT2_i.private_seg_size, 0
	.set _ZL40rocblas_copy_triangular_syrk_herk_kernelILb0ELb1ELb0E19rocblas_complex_numIdEPS1_Li16ELi16EEviT3_ilPT2_i.uses_vcc, 1
	.set _ZL40rocblas_copy_triangular_syrk_herk_kernelILb0ELb1ELb0E19rocblas_complex_numIdEPS1_Li16ELi16EEviT3_ilPT2_i.uses_flat_scratch, 0
	.set _ZL40rocblas_copy_triangular_syrk_herk_kernelILb0ELb1ELb0E19rocblas_complex_numIdEPS1_Li16ELi16EEviT3_ilPT2_i.has_dyn_sized_stack, 0
	.set _ZL40rocblas_copy_triangular_syrk_herk_kernelILb0ELb1ELb0E19rocblas_complex_numIdEPS1_Li16ELi16EEviT3_ilPT2_i.has_recursion, 0
	.set _ZL40rocblas_copy_triangular_syrk_herk_kernelILb0ELb1ELb0E19rocblas_complex_numIdEPS1_Li16ELi16EEviT3_ilPT2_i.has_indirect_call, 0
	.section	.AMDGPU.csdata,"",@progbits
; Kernel info:
; codeLenInByte = 316
; TotalNumSgprs: 14
; NumVgprs: 9
; ScratchSize: 0
; MemoryBound: 0
; FloatMode: 240
; IeeeMode: 1
; LDSByteSize: 0 bytes/workgroup (compile time only)
; SGPRBlocks: 1
; VGPRBlocks: 2
; NumSGPRsForWavesPerEU: 14
; NumVGPRsForWavesPerEU: 9
; Occupancy: 10
; WaveLimiterHint : 0
; COMPUTE_PGM_RSRC2:SCRATCH_EN: 0
; COMPUTE_PGM_RSRC2:USER_SGPR: 6
; COMPUTE_PGM_RSRC2:TRAP_HANDLER: 0
; COMPUTE_PGM_RSRC2:TGID_X_EN: 1
; COMPUTE_PGM_RSRC2:TGID_Y_EN: 1
; COMPUTE_PGM_RSRC2:TGID_Z_EN: 1
; COMPUTE_PGM_RSRC2:TIDIG_COMP_CNT: 1
	.section	.text._ZL40rocblas_copy_triangular_syrk_herk_kernelILb0ELb0ELb0E19rocblas_complex_numIdEPS1_Li16ELi16EEviT3_ilPT2_i,"axG",@progbits,_ZL40rocblas_copy_triangular_syrk_herk_kernelILb0ELb0ELb0E19rocblas_complex_numIdEPS1_Li16ELi16EEviT3_ilPT2_i,comdat
	.globl	_ZL40rocblas_copy_triangular_syrk_herk_kernelILb0ELb0ELb0E19rocblas_complex_numIdEPS1_Li16ELi16EEviT3_ilPT2_i ; -- Begin function _ZL40rocblas_copy_triangular_syrk_herk_kernelILb0ELb0ELb0E19rocblas_complex_numIdEPS1_Li16ELi16EEviT3_ilPT2_i
	.p2align	8
	.type	_ZL40rocblas_copy_triangular_syrk_herk_kernelILb0ELb0ELb0E19rocblas_complex_numIdEPS1_Li16ELi16EEviT3_ilPT2_i,@function
_ZL40rocblas_copy_triangular_syrk_herk_kernelILb0ELb0ELb0E19rocblas_complex_numIdEPS1_Li16ELi16EEviT3_ilPT2_i: ; @_ZL40rocblas_copy_triangular_syrk_herk_kernelILb0ELb0ELb0E19rocblas_complex_numIdEPS1_Li16ELi16EEviT3_ilPT2_i
; %bb.0:
	s_load_dword s0, s[4:5], 0x3c
	s_load_dword s9, s[4:5], 0x0
	s_waitcnt lgkmcnt(0)
	s_lshr_b32 s1, s0, 16
	s_and_b32 s0, s0, 0xffff
	s_mul_i32 s7, s7, s1
	s_mul_i32 s6, s6, s0
	v_add_u32_e32 v1, s7, v1
	v_add_u32_e32 v0, s6, v0
	v_max_i32_e32 v2, v1, v0
	v_cmp_gt_i32_e32 vcc, s9, v2
	v_cmp_lt_i32_e64 s[0:1], v1, v0
	s_and_b64 s[0:1], s[0:1], vcc
	s_and_saveexec_b64 s[2:3], s[0:1]
	s_cbranch_execz .LBB15_2
; %bb.1:
	v_not_b32_e32 v2, v1
	v_lshl_add_u32 v3, s9, 1, v2
	s_add_i32 s6, s9, -1
	v_mul_lo_u32 v3, v3, v1
	s_mul_hi_i32 s7, s6, s9
	s_mul_i32 s6, s6, s9
	s_lshr_b32 s10, s7, 31
	s_add_u32 s6, s6, s10
	s_load_dwordx4 s[0:3], s[4:5], 0x18
	s_addc_u32 s7, s7, 0
	v_lshrrev_b32_e32 v4, 31, v3
	s_ashr_i64 s[6:7], s[6:7], 1
	v_add_u32_e32 v3, v3, v4
	s_mul_i32 s7, s7, s8
	s_mul_hi_u32 s10, s6, s8
	v_ashrrev_i32_e32 v3, 1, v3
	s_add_i32 s7, s10, s7
	s_mul_i32 s6, s6, s8
	v_add3_u32 v2, v0, v2, v3
	s_lshl_b64 s[6:7], s[6:7], 4
	v_ashrrev_i32_e32 v3, 31, v2
	s_waitcnt lgkmcnt(0)
	s_add_u32 s2, s2, s6
	v_lshlrev_b64 v[2:3], 4, v[2:3]
	s_addc_u32 s3, s3, s7
	v_mov_b32_e32 v4, s3
	v_add_co_u32_e32 v2, vcc, s2, v2
	v_addc_co_u32_e32 v3, vcc, v4, v3, vcc
	global_load_dwordx4 v[3:6], v[2:3], off
	s_load_dwordx2 s[2:3], s[4:5], 0x8
	s_load_dword s6, s[4:5], 0x10
	s_mul_i32 s1, s1, s8
	s_mul_hi_u32 s4, s0, s8
	s_add_i32 s1, s4, s1
	s_mul_i32 s0, s0, s8
	s_waitcnt lgkmcnt(0)
	v_mad_i64_i32 v[7:8], s[4:5], v0, s6, 0
	s_lshl_b64 s[0:1], s[0:1], 4
	s_add_u32 s0, s2, s0
	v_lshlrev_b64 v[7:8], 4, v[7:8]
	s_addc_u32 s1, s3, s1
	v_ashrrev_i32_e32 v2, 31, v1
	v_mov_b32_e32 v0, s1
	v_add_co_u32_e32 v7, vcc, s0, v7
	v_addc_co_u32_e32 v8, vcc, v0, v8, vcc
	v_lshlrev_b64 v[0:1], 4, v[1:2]
	v_add_co_u32_e32 v0, vcc, v7, v0
	v_addc_co_u32_e32 v1, vcc, v8, v1, vcc
	s_waitcnt vmcnt(0)
	global_store_dwordx4 v[0:1], v[3:6], off
.LBB15_2:
	s_endpgm
	.section	.rodata,"a",@progbits
	.p2align	6, 0x0
	.amdhsa_kernel _ZL40rocblas_copy_triangular_syrk_herk_kernelILb0ELb0ELb0E19rocblas_complex_numIdEPS1_Li16ELi16EEviT3_ilPT2_i
		.amdhsa_group_segment_fixed_size 0
		.amdhsa_private_segment_fixed_size 0
		.amdhsa_kernarg_size 304
		.amdhsa_user_sgpr_count 6
		.amdhsa_user_sgpr_private_segment_buffer 1
		.amdhsa_user_sgpr_dispatch_ptr 0
		.amdhsa_user_sgpr_queue_ptr 0
		.amdhsa_user_sgpr_kernarg_segment_ptr 1
		.amdhsa_user_sgpr_dispatch_id 0
		.amdhsa_user_sgpr_flat_scratch_init 0
		.amdhsa_user_sgpr_private_segment_size 0
		.amdhsa_uses_dynamic_stack 0
		.amdhsa_system_sgpr_private_segment_wavefront_offset 0
		.amdhsa_system_sgpr_workgroup_id_x 1
		.amdhsa_system_sgpr_workgroup_id_y 1
		.amdhsa_system_sgpr_workgroup_id_z 1
		.amdhsa_system_sgpr_workgroup_info 0
		.amdhsa_system_vgpr_workitem_id 1
		.amdhsa_next_free_vgpr 9
		.amdhsa_next_free_sgpr 11
		.amdhsa_reserve_vcc 1
		.amdhsa_reserve_flat_scratch 0
		.amdhsa_float_round_mode_32 0
		.amdhsa_float_round_mode_16_64 0
		.amdhsa_float_denorm_mode_32 3
		.amdhsa_float_denorm_mode_16_64 3
		.amdhsa_dx10_clamp 1
		.amdhsa_ieee_mode 1
		.amdhsa_fp16_overflow 0
		.amdhsa_exception_fp_ieee_invalid_op 0
		.amdhsa_exception_fp_denorm_src 0
		.amdhsa_exception_fp_ieee_div_zero 0
		.amdhsa_exception_fp_ieee_overflow 0
		.amdhsa_exception_fp_ieee_underflow 0
		.amdhsa_exception_fp_ieee_inexact 0
		.amdhsa_exception_int_div_zero 0
	.end_amdhsa_kernel
	.section	.text._ZL40rocblas_copy_triangular_syrk_herk_kernelILb0ELb0ELb0E19rocblas_complex_numIdEPS1_Li16ELi16EEviT3_ilPT2_i,"axG",@progbits,_ZL40rocblas_copy_triangular_syrk_herk_kernelILb0ELb0ELb0E19rocblas_complex_numIdEPS1_Li16ELi16EEviT3_ilPT2_i,comdat
.Lfunc_end15:
	.size	_ZL40rocblas_copy_triangular_syrk_herk_kernelILb0ELb0ELb0E19rocblas_complex_numIdEPS1_Li16ELi16EEviT3_ilPT2_i, .Lfunc_end15-_ZL40rocblas_copy_triangular_syrk_herk_kernelILb0ELb0ELb0E19rocblas_complex_numIdEPS1_Li16ELi16EEviT3_ilPT2_i
                                        ; -- End function
	.set _ZL40rocblas_copy_triangular_syrk_herk_kernelILb0ELb0ELb0E19rocblas_complex_numIdEPS1_Li16ELi16EEviT3_ilPT2_i.num_vgpr, 9
	.set _ZL40rocblas_copy_triangular_syrk_herk_kernelILb0ELb0ELb0E19rocblas_complex_numIdEPS1_Li16ELi16EEviT3_ilPT2_i.num_agpr, 0
	.set _ZL40rocblas_copy_triangular_syrk_herk_kernelILb0ELb0ELb0E19rocblas_complex_numIdEPS1_Li16ELi16EEviT3_ilPT2_i.numbered_sgpr, 11
	.set _ZL40rocblas_copy_triangular_syrk_herk_kernelILb0ELb0ELb0E19rocblas_complex_numIdEPS1_Li16ELi16EEviT3_ilPT2_i.num_named_barrier, 0
	.set _ZL40rocblas_copy_triangular_syrk_herk_kernelILb0ELb0ELb0E19rocblas_complex_numIdEPS1_Li16ELi16EEviT3_ilPT2_i.private_seg_size, 0
	.set _ZL40rocblas_copy_triangular_syrk_herk_kernelILb0ELb0ELb0E19rocblas_complex_numIdEPS1_Li16ELi16EEviT3_ilPT2_i.uses_vcc, 1
	.set _ZL40rocblas_copy_triangular_syrk_herk_kernelILb0ELb0ELb0E19rocblas_complex_numIdEPS1_Li16ELi16EEviT3_ilPT2_i.uses_flat_scratch, 0
	.set _ZL40rocblas_copy_triangular_syrk_herk_kernelILb0ELb0ELb0E19rocblas_complex_numIdEPS1_Li16ELi16EEviT3_ilPT2_i.has_dyn_sized_stack, 0
	.set _ZL40rocblas_copy_triangular_syrk_herk_kernelILb0ELb0ELb0E19rocblas_complex_numIdEPS1_Li16ELi16EEviT3_ilPT2_i.has_recursion, 0
	.set _ZL40rocblas_copy_triangular_syrk_herk_kernelILb0ELb0ELb0E19rocblas_complex_numIdEPS1_Li16ELi16EEviT3_ilPT2_i.has_indirect_call, 0
	.section	.AMDGPU.csdata,"",@progbits
; Kernel info:
; codeLenInByte = 328
; TotalNumSgprs: 15
; NumVgprs: 9
; ScratchSize: 0
; MemoryBound: 0
; FloatMode: 240
; IeeeMode: 1
; LDSByteSize: 0 bytes/workgroup (compile time only)
; SGPRBlocks: 1
; VGPRBlocks: 2
; NumSGPRsForWavesPerEU: 15
; NumVGPRsForWavesPerEU: 9
; Occupancy: 10
; WaveLimiterHint : 0
; COMPUTE_PGM_RSRC2:SCRATCH_EN: 0
; COMPUTE_PGM_RSRC2:USER_SGPR: 6
; COMPUTE_PGM_RSRC2:TRAP_HANDLER: 0
; COMPUTE_PGM_RSRC2:TGID_X_EN: 1
; COMPUTE_PGM_RSRC2:TGID_Y_EN: 1
; COMPUTE_PGM_RSRC2:TGID_Z_EN: 1
; COMPUTE_PGM_RSRC2:TIDIG_COMP_CNT: 1
	.section	.text._ZL40rocblas_copy_triangular_syrk_herk_kernelILb1ELb1ELb0EfPKPfLi16ELi16EEviT3_ilPT2_i,"axG",@progbits,_ZL40rocblas_copy_triangular_syrk_herk_kernelILb1ELb1ELb0EfPKPfLi16ELi16EEviT3_ilPT2_i,comdat
	.globl	_ZL40rocblas_copy_triangular_syrk_herk_kernelILb1ELb1ELb0EfPKPfLi16ELi16EEviT3_ilPT2_i ; -- Begin function _ZL40rocblas_copy_triangular_syrk_herk_kernelILb1ELb1ELb0EfPKPfLi16ELi16EEviT3_ilPT2_i
	.p2align	8
	.type	_ZL40rocblas_copy_triangular_syrk_herk_kernelILb1ELb1ELb0EfPKPfLi16ELi16EEviT3_ilPT2_i,@function
_ZL40rocblas_copy_triangular_syrk_herk_kernelILb1ELb1ELb0EfPKPfLi16ELi16EEviT3_ilPT2_i: ; @_ZL40rocblas_copy_triangular_syrk_herk_kernelILb1ELb1ELb0EfPKPfLi16ELi16EEviT3_ilPT2_i
; %bb.0:
	s_load_dword s0, s[4:5], 0x3c
	s_load_dword s2, s[4:5], 0x0
	s_waitcnt lgkmcnt(0)
	s_lshr_b32 s1, s0, 16
	s_and_b32 s0, s0, 0xffff
	s_mul_i32 s7, s7, s1
	s_mul_i32 s6, s6, s0
	v_add_u32_e32 v1, s7, v1
	v_add_u32_e32 v0, s6, v0
	v_max_i32_e32 v2, v1, v0
	v_cmp_gt_i32_e32 vcc, s2, v2
	v_cmp_gt_i32_e64 s[0:1], v1, v0
	s_and_b64 s[0:1], s[0:1], vcc
	s_and_saveexec_b64 s[6:7], s[0:1]
	s_cbranch_execz .LBB16_2
; %bb.1:
	s_add_i32 s3, s2, -1
	s_load_dwordx2 s[0:1], s[4:5], 0x8
	s_load_dword s10, s[4:5], 0x10
	s_load_dwordx2 s[6:7], s[4:5], 0x20
	s_mul_hi_i32 s4, s3, s2
	s_mul_i32 s3, s3, s2
	s_lshr_b32 s2, s4, 31
	s_add_u32 s2, s3, s2
	s_addc_u32 s3, s4, 0
	s_ashr_i64 s[2:3], s[2:3], 1
	s_mul_i32 s3, s3, s8
	s_mul_hi_u32 s4, s2, s8
	s_add_i32 s3, s4, s3
	s_mul_i32 s2, s2, s8
	s_lshl_b64 s[2:3], s[2:3], 2
	s_mov_b32 s9, 0
	s_waitcnt lgkmcnt(0)
	s_add_u32 s4, s6, s2
	s_addc_u32 s5, s7, s3
	s_lshl_b64 s[2:3], s[8:9], 3
	s_add_u32 s0, s0, s2
	s_addc_u32 s1, s1, s3
	v_mad_i64_i32 v[3:4], s[2:3], v0, s10, 0
	s_load_dwordx2 s[0:1], s[0:1], 0x0
	v_ashrrev_i32_e32 v2, 31, v1
	v_lshlrev_b64 v[3:4], 2, v[3:4]
	s_waitcnt lgkmcnt(0)
	v_mov_b32_e32 v5, s1
	v_add_co_u32_e32 v6, vcc, s0, v3
	v_lshlrev_b64 v[2:3], 2, v[1:2]
	v_addc_co_u32_e32 v4, vcc, v5, v4, vcc
	v_add_co_u32_e32 v2, vcc, v6, v2
	v_addc_co_u32_e32 v3, vcc, v4, v3, vcc
	flat_load_dword v2, v[2:3]
	v_add_u32_e32 v3, -1, v1
	v_mul_lo_u32 v1, v3, v1
	v_lshrrev_b32_e32 v3, 31, v1
	v_add_u32_e32 v1, v1, v3
	v_ashrrev_i32_e32 v1, 1, v1
	v_add_u32_e32 v0, v1, v0
	v_ashrrev_i32_e32 v1, 31, v0
	v_lshlrev_b64 v[0:1], 2, v[0:1]
	v_mov_b32_e32 v3, s5
	v_add_co_u32_e32 v0, vcc, s4, v0
	v_addc_co_u32_e32 v1, vcc, v3, v1, vcc
	s_waitcnt vmcnt(0) lgkmcnt(0)
	global_store_dword v[0:1], v2, off
.LBB16_2:
	s_endpgm
	.section	.rodata,"a",@progbits
	.p2align	6, 0x0
	.amdhsa_kernel _ZL40rocblas_copy_triangular_syrk_herk_kernelILb1ELb1ELb0EfPKPfLi16ELi16EEviT3_ilPT2_i
		.amdhsa_group_segment_fixed_size 0
		.amdhsa_private_segment_fixed_size 0
		.amdhsa_kernarg_size 304
		.amdhsa_user_sgpr_count 6
		.amdhsa_user_sgpr_private_segment_buffer 1
		.amdhsa_user_sgpr_dispatch_ptr 0
		.amdhsa_user_sgpr_queue_ptr 0
		.amdhsa_user_sgpr_kernarg_segment_ptr 1
		.amdhsa_user_sgpr_dispatch_id 0
		.amdhsa_user_sgpr_flat_scratch_init 0
		.amdhsa_user_sgpr_private_segment_size 0
		.amdhsa_uses_dynamic_stack 0
		.amdhsa_system_sgpr_private_segment_wavefront_offset 0
		.amdhsa_system_sgpr_workgroup_id_x 1
		.amdhsa_system_sgpr_workgroup_id_y 1
		.amdhsa_system_sgpr_workgroup_id_z 1
		.amdhsa_system_sgpr_workgroup_info 0
		.amdhsa_system_vgpr_workitem_id 1
		.amdhsa_next_free_vgpr 7
		.amdhsa_next_free_sgpr 11
		.amdhsa_reserve_vcc 1
		.amdhsa_reserve_flat_scratch 0
		.amdhsa_float_round_mode_32 0
		.amdhsa_float_round_mode_16_64 0
		.amdhsa_float_denorm_mode_32 3
		.amdhsa_float_denorm_mode_16_64 3
		.amdhsa_dx10_clamp 1
		.amdhsa_ieee_mode 1
		.amdhsa_fp16_overflow 0
		.amdhsa_exception_fp_ieee_invalid_op 0
		.amdhsa_exception_fp_denorm_src 0
		.amdhsa_exception_fp_ieee_div_zero 0
		.amdhsa_exception_fp_ieee_overflow 0
		.amdhsa_exception_fp_ieee_underflow 0
		.amdhsa_exception_fp_ieee_inexact 0
		.amdhsa_exception_int_div_zero 0
	.end_amdhsa_kernel
	.section	.text._ZL40rocblas_copy_triangular_syrk_herk_kernelILb1ELb1ELb0EfPKPfLi16ELi16EEviT3_ilPT2_i,"axG",@progbits,_ZL40rocblas_copy_triangular_syrk_herk_kernelILb1ELb1ELb0EfPKPfLi16ELi16EEviT3_ilPT2_i,comdat
.Lfunc_end16:
	.size	_ZL40rocblas_copy_triangular_syrk_herk_kernelILb1ELb1ELb0EfPKPfLi16ELi16EEviT3_ilPT2_i, .Lfunc_end16-_ZL40rocblas_copy_triangular_syrk_herk_kernelILb1ELb1ELb0EfPKPfLi16ELi16EEviT3_ilPT2_i
                                        ; -- End function
	.set _ZL40rocblas_copy_triangular_syrk_herk_kernelILb1ELb1ELb0EfPKPfLi16ELi16EEviT3_ilPT2_i.num_vgpr, 7
	.set _ZL40rocblas_copy_triangular_syrk_herk_kernelILb1ELb1ELb0EfPKPfLi16ELi16EEviT3_ilPT2_i.num_agpr, 0
	.set _ZL40rocblas_copy_triangular_syrk_herk_kernelILb1ELb1ELb0EfPKPfLi16ELi16EEviT3_ilPT2_i.numbered_sgpr, 11
	.set _ZL40rocblas_copy_triangular_syrk_herk_kernelILb1ELb1ELb0EfPKPfLi16ELi16EEviT3_ilPT2_i.num_named_barrier, 0
	.set _ZL40rocblas_copy_triangular_syrk_herk_kernelILb1ELb1ELb0EfPKPfLi16ELi16EEviT3_ilPT2_i.private_seg_size, 0
	.set _ZL40rocblas_copy_triangular_syrk_herk_kernelILb1ELb1ELb0EfPKPfLi16ELi16EEviT3_ilPT2_i.uses_vcc, 1
	.set _ZL40rocblas_copy_triangular_syrk_herk_kernelILb1ELb1ELb0EfPKPfLi16ELi16EEviT3_ilPT2_i.uses_flat_scratch, 0
	.set _ZL40rocblas_copy_triangular_syrk_herk_kernelILb1ELb1ELb0EfPKPfLi16ELi16EEviT3_ilPT2_i.has_dyn_sized_stack, 0
	.set _ZL40rocblas_copy_triangular_syrk_herk_kernelILb1ELb1ELb0EfPKPfLi16ELi16EEviT3_ilPT2_i.has_recursion, 0
	.set _ZL40rocblas_copy_triangular_syrk_herk_kernelILb1ELb1ELb0EfPKPfLi16ELi16EEviT3_ilPT2_i.has_indirect_call, 0
	.section	.AMDGPU.csdata,"",@progbits
; Kernel info:
; codeLenInByte = 312
; TotalNumSgprs: 15
; NumVgprs: 7
; ScratchSize: 0
; MemoryBound: 0
; FloatMode: 240
; IeeeMode: 1
; LDSByteSize: 0 bytes/workgroup (compile time only)
; SGPRBlocks: 1
; VGPRBlocks: 1
; NumSGPRsForWavesPerEU: 15
; NumVGPRsForWavesPerEU: 7
; Occupancy: 10
; WaveLimiterHint : 1
; COMPUTE_PGM_RSRC2:SCRATCH_EN: 0
; COMPUTE_PGM_RSRC2:USER_SGPR: 6
; COMPUTE_PGM_RSRC2:TRAP_HANDLER: 0
; COMPUTE_PGM_RSRC2:TGID_X_EN: 1
; COMPUTE_PGM_RSRC2:TGID_Y_EN: 1
; COMPUTE_PGM_RSRC2:TGID_Z_EN: 1
; COMPUTE_PGM_RSRC2:TIDIG_COMP_CNT: 1
	.section	.text._ZL40rocblas_copy_triangular_syrk_herk_kernelILb1ELb0ELb0EfPKPfLi16ELi16EEviT3_ilPT2_i,"axG",@progbits,_ZL40rocblas_copy_triangular_syrk_herk_kernelILb1ELb0ELb0EfPKPfLi16ELi16EEviT3_ilPT2_i,comdat
	.globl	_ZL40rocblas_copy_triangular_syrk_herk_kernelILb1ELb0ELb0EfPKPfLi16ELi16EEviT3_ilPT2_i ; -- Begin function _ZL40rocblas_copy_triangular_syrk_herk_kernelILb1ELb0ELb0EfPKPfLi16ELi16EEviT3_ilPT2_i
	.p2align	8
	.type	_ZL40rocblas_copy_triangular_syrk_herk_kernelILb1ELb0ELb0EfPKPfLi16ELi16EEviT3_ilPT2_i,@function
_ZL40rocblas_copy_triangular_syrk_herk_kernelILb1ELb0ELb0EfPKPfLi16ELi16EEviT3_ilPT2_i: ; @_ZL40rocblas_copy_triangular_syrk_herk_kernelILb1ELb0ELb0EfPKPfLi16ELi16EEviT3_ilPT2_i
; %bb.0:
	s_load_dword s0, s[4:5], 0x3c
	s_load_dword s2, s[4:5], 0x0
	s_waitcnt lgkmcnt(0)
	s_lshr_b32 s1, s0, 16
	s_and_b32 s0, s0, 0xffff
	s_mul_i32 s7, s7, s1
	s_mul_i32 s6, s6, s0
	v_add_u32_e32 v1, s7, v1
	v_add_u32_e32 v0, s6, v0
	v_max_i32_e32 v2, v1, v0
	v_cmp_gt_i32_e32 vcc, s2, v2
	v_cmp_lt_i32_e64 s[0:1], v1, v0
	s_and_b64 s[0:1], s[0:1], vcc
	s_and_saveexec_b64 s[6:7], s[0:1]
	s_cbranch_execz .LBB17_2
; %bb.1:
	s_load_dwordx2 s[0:1], s[4:5], 0x8
	s_load_dword s3, s[4:5], 0x10
	s_load_dwordx2 s[6:7], s[4:5], 0x20
	s_add_i32 s4, s2, -1
	s_mul_hi_i32 s5, s4, s2
	s_mul_i32 s4, s4, s2
	s_lshr_b32 s10, s5, 31
	s_add_u32 s4, s4, s10
	s_addc_u32 s5, s5, 0
	s_ashr_i64 s[4:5], s[4:5], 1
	s_mul_i32 s5, s5, s8
	s_mul_hi_u32 s10, s4, s8
	s_add_i32 s5, s10, s5
	s_mul_i32 s4, s4, s8
	s_lshl_b64 s[4:5], s[4:5], 2
	s_mov_b32 s9, 0
	s_waitcnt lgkmcnt(0)
	s_add_u32 s6, s6, s4
	s_addc_u32 s7, s7, s5
	s_lshl_b64 s[4:5], s[8:9], 3
	s_add_u32 s0, s0, s4
	s_addc_u32 s1, s1, s5
	v_mad_i64_i32 v[3:4], s[4:5], v0, s3, 0
	s_load_dwordx2 s[0:1], s[0:1], 0x0
	v_ashrrev_i32_e32 v2, 31, v1
	v_lshlrev_b64 v[3:4], 2, v[3:4]
	s_waitcnt lgkmcnt(0)
	v_mov_b32_e32 v5, s1
	v_add_co_u32_e32 v6, vcc, s0, v3
	v_lshlrev_b64 v[2:3], 2, v[1:2]
	v_addc_co_u32_e32 v4, vcc, v5, v4, vcc
	v_add_co_u32_e32 v2, vcc, v6, v2
	v_addc_co_u32_e32 v3, vcc, v4, v3, vcc
	flat_load_dword v2, v[2:3]
	v_not_b32_e32 v3, v1
	v_lshl_add_u32 v4, s2, 1, v3
	v_mul_lo_u32 v1, v4, v1
	v_lshrrev_b32_e32 v4, 31, v1
	v_add_u32_e32 v1, v1, v4
	v_ashrrev_i32_e32 v1, 1, v1
	v_add3_u32 v0, v0, v3, v1
	v_ashrrev_i32_e32 v1, 31, v0
	v_lshlrev_b64 v[0:1], 2, v[0:1]
	v_mov_b32_e32 v3, s7
	v_add_co_u32_e32 v0, vcc, s6, v0
	v_addc_co_u32_e32 v1, vcc, v3, v1, vcc
	s_waitcnt vmcnt(0) lgkmcnt(0)
	global_store_dword v[0:1], v2, off
.LBB17_2:
	s_endpgm
	.section	.rodata,"a",@progbits
	.p2align	6, 0x0
	.amdhsa_kernel _ZL40rocblas_copy_triangular_syrk_herk_kernelILb1ELb0ELb0EfPKPfLi16ELi16EEviT3_ilPT2_i
		.amdhsa_group_segment_fixed_size 0
		.amdhsa_private_segment_fixed_size 0
		.amdhsa_kernarg_size 304
		.amdhsa_user_sgpr_count 6
		.amdhsa_user_sgpr_private_segment_buffer 1
		.amdhsa_user_sgpr_dispatch_ptr 0
		.amdhsa_user_sgpr_queue_ptr 0
		.amdhsa_user_sgpr_kernarg_segment_ptr 1
		.amdhsa_user_sgpr_dispatch_id 0
		.amdhsa_user_sgpr_flat_scratch_init 0
		.amdhsa_user_sgpr_private_segment_size 0
		.amdhsa_uses_dynamic_stack 0
		.amdhsa_system_sgpr_private_segment_wavefront_offset 0
		.amdhsa_system_sgpr_workgroup_id_x 1
		.amdhsa_system_sgpr_workgroup_id_y 1
		.amdhsa_system_sgpr_workgroup_id_z 1
		.amdhsa_system_sgpr_workgroup_info 0
		.amdhsa_system_vgpr_workitem_id 1
		.amdhsa_next_free_vgpr 7
		.amdhsa_next_free_sgpr 11
		.amdhsa_reserve_vcc 1
		.amdhsa_reserve_flat_scratch 0
		.amdhsa_float_round_mode_32 0
		.amdhsa_float_round_mode_16_64 0
		.amdhsa_float_denorm_mode_32 3
		.amdhsa_float_denorm_mode_16_64 3
		.amdhsa_dx10_clamp 1
		.amdhsa_ieee_mode 1
		.amdhsa_fp16_overflow 0
		.amdhsa_exception_fp_ieee_invalid_op 0
		.amdhsa_exception_fp_denorm_src 0
		.amdhsa_exception_fp_ieee_div_zero 0
		.amdhsa_exception_fp_ieee_overflow 0
		.amdhsa_exception_fp_ieee_underflow 0
		.amdhsa_exception_fp_ieee_inexact 0
		.amdhsa_exception_int_div_zero 0
	.end_amdhsa_kernel
	.section	.text._ZL40rocblas_copy_triangular_syrk_herk_kernelILb1ELb0ELb0EfPKPfLi16ELi16EEviT3_ilPT2_i,"axG",@progbits,_ZL40rocblas_copy_triangular_syrk_herk_kernelILb1ELb0ELb0EfPKPfLi16ELi16EEviT3_ilPT2_i,comdat
.Lfunc_end17:
	.size	_ZL40rocblas_copy_triangular_syrk_herk_kernelILb1ELb0ELb0EfPKPfLi16ELi16EEviT3_ilPT2_i, .Lfunc_end17-_ZL40rocblas_copy_triangular_syrk_herk_kernelILb1ELb0ELb0EfPKPfLi16ELi16EEviT3_ilPT2_i
                                        ; -- End function
	.set _ZL40rocblas_copy_triangular_syrk_herk_kernelILb1ELb0ELb0EfPKPfLi16ELi16EEviT3_ilPT2_i.num_vgpr, 7
	.set _ZL40rocblas_copy_triangular_syrk_herk_kernelILb1ELb0ELb0EfPKPfLi16ELi16EEviT3_ilPT2_i.num_agpr, 0
	.set _ZL40rocblas_copy_triangular_syrk_herk_kernelILb1ELb0ELb0EfPKPfLi16ELi16EEviT3_ilPT2_i.numbered_sgpr, 11
	.set _ZL40rocblas_copy_triangular_syrk_herk_kernelILb1ELb0ELb0EfPKPfLi16ELi16EEviT3_ilPT2_i.num_named_barrier, 0
	.set _ZL40rocblas_copy_triangular_syrk_herk_kernelILb1ELb0ELb0EfPKPfLi16ELi16EEviT3_ilPT2_i.private_seg_size, 0
	.set _ZL40rocblas_copy_triangular_syrk_herk_kernelILb1ELb0ELb0EfPKPfLi16ELi16EEviT3_ilPT2_i.uses_vcc, 1
	.set _ZL40rocblas_copy_triangular_syrk_herk_kernelILb1ELb0ELb0EfPKPfLi16ELi16EEviT3_ilPT2_i.uses_flat_scratch, 0
	.set _ZL40rocblas_copy_triangular_syrk_herk_kernelILb1ELb0ELb0EfPKPfLi16ELi16EEviT3_ilPT2_i.has_dyn_sized_stack, 0
	.set _ZL40rocblas_copy_triangular_syrk_herk_kernelILb1ELb0ELb0EfPKPfLi16ELi16EEviT3_ilPT2_i.has_recursion, 0
	.set _ZL40rocblas_copy_triangular_syrk_herk_kernelILb1ELb0ELb0EfPKPfLi16ELi16EEviT3_ilPT2_i.has_indirect_call, 0
	.section	.AMDGPU.csdata,"",@progbits
; Kernel info:
; codeLenInByte = 324
; TotalNumSgprs: 15
; NumVgprs: 7
; ScratchSize: 0
; MemoryBound: 0
; FloatMode: 240
; IeeeMode: 1
; LDSByteSize: 0 bytes/workgroup (compile time only)
; SGPRBlocks: 1
; VGPRBlocks: 1
; NumSGPRsForWavesPerEU: 15
; NumVGPRsForWavesPerEU: 7
; Occupancy: 10
; WaveLimiterHint : 1
; COMPUTE_PGM_RSRC2:SCRATCH_EN: 0
; COMPUTE_PGM_RSRC2:USER_SGPR: 6
; COMPUTE_PGM_RSRC2:TRAP_HANDLER: 0
; COMPUTE_PGM_RSRC2:TGID_X_EN: 1
; COMPUTE_PGM_RSRC2:TGID_Y_EN: 1
; COMPUTE_PGM_RSRC2:TGID_Z_EN: 1
; COMPUTE_PGM_RSRC2:TIDIG_COMP_CNT: 1
	.section	.text._ZL40rocblas_copy_triangular_syrk_herk_kernelILb0ELb1ELb0EfPKPfLi16ELi16EEviT3_ilPT2_i,"axG",@progbits,_ZL40rocblas_copy_triangular_syrk_herk_kernelILb0ELb1ELb0EfPKPfLi16ELi16EEviT3_ilPT2_i,comdat
	.globl	_ZL40rocblas_copy_triangular_syrk_herk_kernelILb0ELb1ELb0EfPKPfLi16ELi16EEviT3_ilPT2_i ; -- Begin function _ZL40rocblas_copy_triangular_syrk_herk_kernelILb0ELb1ELb0EfPKPfLi16ELi16EEviT3_ilPT2_i
	.p2align	8
	.type	_ZL40rocblas_copy_triangular_syrk_herk_kernelILb0ELb1ELb0EfPKPfLi16ELi16EEviT3_ilPT2_i,@function
_ZL40rocblas_copy_triangular_syrk_herk_kernelILb0ELb1ELb0EfPKPfLi16ELi16EEviT3_ilPT2_i: ; @_ZL40rocblas_copy_triangular_syrk_herk_kernelILb0ELb1ELb0EfPKPfLi16ELi16EEviT3_ilPT2_i
; %bb.0:
	s_load_dword s0, s[4:5], 0x3c
	s_load_dword s2, s[4:5], 0x0
	s_waitcnt lgkmcnt(0)
	s_lshr_b32 s1, s0, 16
	s_and_b32 s0, s0, 0xffff
	s_mul_i32 s7, s7, s1
	s_mul_i32 s6, s6, s0
	v_add_u32_e32 v1, s7, v1
	v_add_u32_e32 v0, s6, v0
	v_max_i32_e32 v2, v1, v0
	v_cmp_gt_i32_e32 vcc, s2, v2
	v_cmp_gt_i32_e64 s[0:1], v1, v0
	s_and_b64 s[0:1], s[0:1], vcc
	s_and_saveexec_b64 s[6:7], s[0:1]
	s_cbranch_execz .LBB18_2
; %bb.1:
	v_add_u32_e32 v2, -1, v1
	s_add_i32 s3, s2, -1
	v_mul_lo_u32 v2, v2, v1
	s_mul_hi_i32 s6, s3, s2
	s_mul_i32 s3, s3, s2
	s_lshr_b32 s2, s6, 31
	s_add_u32 s2, s3, s2
	s_load_dwordx2 s[0:1], s[4:5], 0x20
	s_addc_u32 s3, s6, 0
	v_lshrrev_b32_e32 v3, 31, v2
	s_ashr_i64 s[2:3], s[2:3], 1
	v_add_u32_e32 v2, v2, v3
	s_mul_i32 s3, s3, s8
	s_mul_hi_u32 s6, s2, s8
	v_ashrrev_i32_e32 v2, 1, v2
	s_add_i32 s3, s6, s3
	s_mul_i32 s2, s2, s8
	v_add_u32_e32 v2, v2, v0
	s_lshl_b64 s[2:3], s[2:3], 2
	v_ashrrev_i32_e32 v3, 31, v2
	s_waitcnt lgkmcnt(0)
	s_add_u32 s0, s0, s2
	v_lshlrev_b64 v[2:3], 2, v[2:3]
	s_addc_u32 s1, s1, s3
	v_mov_b32_e32 v4, s1
	v_add_co_u32_e32 v2, vcc, s0, v2
	v_addc_co_u32_e32 v3, vcc, v4, v3, vcc
	global_load_dword v5, v[2:3], off
	s_load_dwordx2 s[0:1], s[4:5], 0x8
	s_load_dword s6, s[4:5], 0x10
	s_mov_b32 s9, 0
	s_lshl_b64 s[2:3], s[8:9], 3
	v_ashrrev_i32_e32 v2, 31, v1
	s_waitcnt lgkmcnt(0)
	s_add_u32 s0, s0, s2
	s_addc_u32 s1, s1, s3
	v_mad_i64_i32 v[3:4], s[2:3], v0, s6, 0
	s_load_dwordx2 s[0:1], s[0:1], 0x0
	v_lshlrev_b64 v[3:4], 2, v[3:4]
	s_waitcnt lgkmcnt(0)
	v_mov_b32_e32 v0, s1
	v_add_co_u32_e32 v3, vcc, s0, v3
	v_addc_co_u32_e32 v4, vcc, v0, v4, vcc
	v_lshlrev_b64 v[0:1], 2, v[1:2]
	v_add_co_u32_e32 v0, vcc, v3, v0
	v_addc_co_u32_e32 v1, vcc, v4, v1, vcc
	s_waitcnt vmcnt(0)
	flat_store_dword v[0:1], v5
.LBB18_2:
	s_endpgm
	.section	.rodata,"a",@progbits
	.p2align	6, 0x0
	.amdhsa_kernel _ZL40rocblas_copy_triangular_syrk_herk_kernelILb0ELb1ELb0EfPKPfLi16ELi16EEviT3_ilPT2_i
		.amdhsa_group_segment_fixed_size 0
		.amdhsa_private_segment_fixed_size 0
		.amdhsa_kernarg_size 304
		.amdhsa_user_sgpr_count 6
		.amdhsa_user_sgpr_private_segment_buffer 1
		.amdhsa_user_sgpr_dispatch_ptr 0
		.amdhsa_user_sgpr_queue_ptr 0
		.amdhsa_user_sgpr_kernarg_segment_ptr 1
		.amdhsa_user_sgpr_dispatch_id 0
		.amdhsa_user_sgpr_flat_scratch_init 0
		.amdhsa_user_sgpr_private_segment_size 0
		.amdhsa_uses_dynamic_stack 0
		.amdhsa_system_sgpr_private_segment_wavefront_offset 0
		.amdhsa_system_sgpr_workgroup_id_x 1
		.amdhsa_system_sgpr_workgroup_id_y 1
		.amdhsa_system_sgpr_workgroup_id_z 1
		.amdhsa_system_sgpr_workgroup_info 0
		.amdhsa_system_vgpr_workitem_id 1
		.amdhsa_next_free_vgpr 6
		.amdhsa_next_free_sgpr 10
		.amdhsa_reserve_vcc 1
		.amdhsa_reserve_flat_scratch 0
		.amdhsa_float_round_mode_32 0
		.amdhsa_float_round_mode_16_64 0
		.amdhsa_float_denorm_mode_32 3
		.amdhsa_float_denorm_mode_16_64 3
		.amdhsa_dx10_clamp 1
		.amdhsa_ieee_mode 1
		.amdhsa_fp16_overflow 0
		.amdhsa_exception_fp_ieee_invalid_op 0
		.amdhsa_exception_fp_denorm_src 0
		.amdhsa_exception_fp_ieee_div_zero 0
		.amdhsa_exception_fp_ieee_overflow 0
		.amdhsa_exception_fp_ieee_underflow 0
		.amdhsa_exception_fp_ieee_inexact 0
		.amdhsa_exception_int_div_zero 0
	.end_amdhsa_kernel
	.section	.text._ZL40rocblas_copy_triangular_syrk_herk_kernelILb0ELb1ELb0EfPKPfLi16ELi16EEviT3_ilPT2_i,"axG",@progbits,_ZL40rocblas_copy_triangular_syrk_herk_kernelILb0ELb1ELb0EfPKPfLi16ELi16EEviT3_ilPT2_i,comdat
.Lfunc_end18:
	.size	_ZL40rocblas_copy_triangular_syrk_herk_kernelILb0ELb1ELb0EfPKPfLi16ELi16EEviT3_ilPT2_i, .Lfunc_end18-_ZL40rocblas_copy_triangular_syrk_herk_kernelILb0ELb1ELb0EfPKPfLi16ELi16EEviT3_ilPT2_i
                                        ; -- End function
	.set _ZL40rocblas_copy_triangular_syrk_herk_kernelILb0ELb1ELb0EfPKPfLi16ELi16EEviT3_ilPT2_i.num_vgpr, 6
	.set _ZL40rocblas_copy_triangular_syrk_herk_kernelILb0ELb1ELb0EfPKPfLi16ELi16EEviT3_ilPT2_i.num_agpr, 0
	.set _ZL40rocblas_copy_triangular_syrk_herk_kernelILb0ELb1ELb0EfPKPfLi16ELi16EEviT3_ilPT2_i.numbered_sgpr, 10
	.set _ZL40rocblas_copy_triangular_syrk_herk_kernelILb0ELb1ELb0EfPKPfLi16ELi16EEviT3_ilPT2_i.num_named_barrier, 0
	.set _ZL40rocblas_copy_triangular_syrk_herk_kernelILb0ELb1ELb0EfPKPfLi16ELi16EEviT3_ilPT2_i.private_seg_size, 0
	.set _ZL40rocblas_copy_triangular_syrk_herk_kernelILb0ELb1ELb0EfPKPfLi16ELi16EEviT3_ilPT2_i.uses_vcc, 1
	.set _ZL40rocblas_copy_triangular_syrk_herk_kernelILb0ELb1ELb0EfPKPfLi16ELi16EEviT3_ilPT2_i.uses_flat_scratch, 0
	.set _ZL40rocblas_copy_triangular_syrk_herk_kernelILb0ELb1ELb0EfPKPfLi16ELi16EEviT3_ilPT2_i.has_dyn_sized_stack, 0
	.set _ZL40rocblas_copy_triangular_syrk_herk_kernelILb0ELb1ELb0EfPKPfLi16ELi16EEviT3_ilPT2_i.has_recursion, 0
	.set _ZL40rocblas_copy_triangular_syrk_herk_kernelILb0ELb1ELb0EfPKPfLi16ELi16EEviT3_ilPT2_i.has_indirect_call, 0
	.section	.AMDGPU.csdata,"",@progbits
; Kernel info:
; codeLenInByte = 316
; TotalNumSgprs: 14
; NumVgprs: 6
; ScratchSize: 0
; MemoryBound: 0
; FloatMode: 240
; IeeeMode: 1
; LDSByteSize: 0 bytes/workgroup (compile time only)
; SGPRBlocks: 1
; VGPRBlocks: 1
; NumSGPRsForWavesPerEU: 14
; NumVGPRsForWavesPerEU: 6
; Occupancy: 10
; WaveLimiterHint : 1
; COMPUTE_PGM_RSRC2:SCRATCH_EN: 0
; COMPUTE_PGM_RSRC2:USER_SGPR: 6
; COMPUTE_PGM_RSRC2:TRAP_HANDLER: 0
; COMPUTE_PGM_RSRC2:TGID_X_EN: 1
; COMPUTE_PGM_RSRC2:TGID_Y_EN: 1
; COMPUTE_PGM_RSRC2:TGID_Z_EN: 1
; COMPUTE_PGM_RSRC2:TIDIG_COMP_CNT: 1
	.section	.text._ZL40rocblas_copy_triangular_syrk_herk_kernelILb0ELb0ELb0EfPKPfLi16ELi16EEviT3_ilPT2_i,"axG",@progbits,_ZL40rocblas_copy_triangular_syrk_herk_kernelILb0ELb0ELb0EfPKPfLi16ELi16EEviT3_ilPT2_i,comdat
	.globl	_ZL40rocblas_copy_triangular_syrk_herk_kernelILb0ELb0ELb0EfPKPfLi16ELi16EEviT3_ilPT2_i ; -- Begin function _ZL40rocblas_copy_triangular_syrk_herk_kernelILb0ELb0ELb0EfPKPfLi16ELi16EEviT3_ilPT2_i
	.p2align	8
	.type	_ZL40rocblas_copy_triangular_syrk_herk_kernelILb0ELb0ELb0EfPKPfLi16ELi16EEviT3_ilPT2_i,@function
_ZL40rocblas_copy_triangular_syrk_herk_kernelILb0ELb0ELb0EfPKPfLi16ELi16EEviT3_ilPT2_i: ; @_ZL40rocblas_copy_triangular_syrk_herk_kernelILb0ELb0ELb0EfPKPfLi16ELi16EEviT3_ilPT2_i
; %bb.0:
	s_load_dword s0, s[4:5], 0x3c
	s_load_dword s2, s[4:5], 0x0
	s_waitcnt lgkmcnt(0)
	s_lshr_b32 s1, s0, 16
	s_and_b32 s0, s0, 0xffff
	s_mul_i32 s7, s7, s1
	s_mul_i32 s6, s6, s0
	v_add_u32_e32 v1, s7, v1
	v_add_u32_e32 v0, s6, v0
	v_max_i32_e32 v2, v1, v0
	v_cmp_gt_i32_e32 vcc, s2, v2
	v_cmp_lt_i32_e64 s[0:1], v1, v0
	s_and_b64 s[0:1], s[0:1], vcc
	s_and_saveexec_b64 s[6:7], s[0:1]
	s_cbranch_execz .LBB19_2
; %bb.1:
	v_not_b32_e32 v2, v1
	v_lshl_add_u32 v3, s2, 1, v2
	s_add_i32 s3, s2, -1
	v_mul_lo_u32 v3, v3, v1
	s_mul_hi_i32 s7, s3, s2
	s_mul_i32 s3, s3, s2
	s_lshr_b32 s6, s7, 31
	s_add_u32 s6, s3, s6
	s_load_dwordx2 s[0:1], s[4:5], 0x20
	s_addc_u32 s7, s7, 0
	v_lshrrev_b32_e32 v4, 31, v3
	s_ashr_i64 s[6:7], s[6:7], 1
	v_add_u32_e32 v3, v3, v4
	s_mul_i32 s3, s7, s8
	s_mul_hi_u32 s7, s6, s8
	v_ashrrev_i32_e32 v3, 1, v3
	s_add_i32 s7, s7, s3
	s_mul_i32 s6, s6, s8
	v_add3_u32 v2, v0, v2, v3
	s_lshl_b64 s[2:3], s[6:7], 2
	v_ashrrev_i32_e32 v3, 31, v2
	s_waitcnt lgkmcnt(0)
	s_add_u32 s0, s0, s2
	v_lshlrev_b64 v[2:3], 2, v[2:3]
	s_addc_u32 s1, s1, s3
	v_mov_b32_e32 v4, s1
	v_add_co_u32_e32 v2, vcc, s0, v2
	v_addc_co_u32_e32 v3, vcc, v4, v3, vcc
	global_load_dword v5, v[2:3], off
	s_load_dwordx2 s[0:1], s[4:5], 0x8
	s_load_dword s6, s[4:5], 0x10
	s_mov_b32 s9, 0
	s_lshl_b64 s[2:3], s[8:9], 3
	v_ashrrev_i32_e32 v2, 31, v1
	s_waitcnt lgkmcnt(0)
	s_add_u32 s0, s0, s2
	s_addc_u32 s1, s1, s3
	v_mad_i64_i32 v[3:4], s[2:3], v0, s6, 0
	s_load_dwordx2 s[0:1], s[0:1], 0x0
	v_lshlrev_b64 v[3:4], 2, v[3:4]
	s_waitcnt lgkmcnt(0)
	v_mov_b32_e32 v0, s1
	v_add_co_u32_e32 v3, vcc, s0, v3
	v_addc_co_u32_e32 v4, vcc, v0, v4, vcc
	v_lshlrev_b64 v[0:1], 2, v[1:2]
	v_add_co_u32_e32 v0, vcc, v3, v0
	v_addc_co_u32_e32 v1, vcc, v4, v1, vcc
	s_waitcnt vmcnt(0)
	flat_store_dword v[0:1], v5
.LBB19_2:
	s_endpgm
	.section	.rodata,"a",@progbits
	.p2align	6, 0x0
	.amdhsa_kernel _ZL40rocblas_copy_triangular_syrk_herk_kernelILb0ELb0ELb0EfPKPfLi16ELi16EEviT3_ilPT2_i
		.amdhsa_group_segment_fixed_size 0
		.amdhsa_private_segment_fixed_size 0
		.amdhsa_kernarg_size 304
		.amdhsa_user_sgpr_count 6
		.amdhsa_user_sgpr_private_segment_buffer 1
		.amdhsa_user_sgpr_dispatch_ptr 0
		.amdhsa_user_sgpr_queue_ptr 0
		.amdhsa_user_sgpr_kernarg_segment_ptr 1
		.amdhsa_user_sgpr_dispatch_id 0
		.amdhsa_user_sgpr_flat_scratch_init 0
		.amdhsa_user_sgpr_private_segment_size 0
		.amdhsa_uses_dynamic_stack 0
		.amdhsa_system_sgpr_private_segment_wavefront_offset 0
		.amdhsa_system_sgpr_workgroup_id_x 1
		.amdhsa_system_sgpr_workgroup_id_y 1
		.amdhsa_system_sgpr_workgroup_id_z 1
		.amdhsa_system_sgpr_workgroup_info 0
		.amdhsa_system_vgpr_workitem_id 1
		.amdhsa_next_free_vgpr 6
		.amdhsa_next_free_sgpr 10
		.amdhsa_reserve_vcc 1
		.amdhsa_reserve_flat_scratch 0
		.amdhsa_float_round_mode_32 0
		.amdhsa_float_round_mode_16_64 0
		.amdhsa_float_denorm_mode_32 3
		.amdhsa_float_denorm_mode_16_64 3
		.amdhsa_dx10_clamp 1
		.amdhsa_ieee_mode 1
		.amdhsa_fp16_overflow 0
		.amdhsa_exception_fp_ieee_invalid_op 0
		.amdhsa_exception_fp_denorm_src 0
		.amdhsa_exception_fp_ieee_div_zero 0
		.amdhsa_exception_fp_ieee_overflow 0
		.amdhsa_exception_fp_ieee_underflow 0
		.amdhsa_exception_fp_ieee_inexact 0
		.amdhsa_exception_int_div_zero 0
	.end_amdhsa_kernel
	.section	.text._ZL40rocblas_copy_triangular_syrk_herk_kernelILb0ELb0ELb0EfPKPfLi16ELi16EEviT3_ilPT2_i,"axG",@progbits,_ZL40rocblas_copy_triangular_syrk_herk_kernelILb0ELb0ELb0EfPKPfLi16ELi16EEviT3_ilPT2_i,comdat
.Lfunc_end19:
	.size	_ZL40rocblas_copy_triangular_syrk_herk_kernelILb0ELb0ELb0EfPKPfLi16ELi16EEviT3_ilPT2_i, .Lfunc_end19-_ZL40rocblas_copy_triangular_syrk_herk_kernelILb0ELb0ELb0EfPKPfLi16ELi16EEviT3_ilPT2_i
                                        ; -- End function
	.set _ZL40rocblas_copy_triangular_syrk_herk_kernelILb0ELb0ELb0EfPKPfLi16ELi16EEviT3_ilPT2_i.num_vgpr, 6
	.set _ZL40rocblas_copy_triangular_syrk_herk_kernelILb0ELb0ELb0EfPKPfLi16ELi16EEviT3_ilPT2_i.num_agpr, 0
	.set _ZL40rocblas_copy_triangular_syrk_herk_kernelILb0ELb0ELb0EfPKPfLi16ELi16EEviT3_ilPT2_i.numbered_sgpr, 10
	.set _ZL40rocblas_copy_triangular_syrk_herk_kernelILb0ELb0ELb0EfPKPfLi16ELi16EEviT3_ilPT2_i.num_named_barrier, 0
	.set _ZL40rocblas_copy_triangular_syrk_herk_kernelILb0ELb0ELb0EfPKPfLi16ELi16EEviT3_ilPT2_i.private_seg_size, 0
	.set _ZL40rocblas_copy_triangular_syrk_herk_kernelILb0ELb0ELb0EfPKPfLi16ELi16EEviT3_ilPT2_i.uses_vcc, 1
	.set _ZL40rocblas_copy_triangular_syrk_herk_kernelILb0ELb0ELb0EfPKPfLi16ELi16EEviT3_ilPT2_i.uses_flat_scratch, 0
	.set _ZL40rocblas_copy_triangular_syrk_herk_kernelILb0ELb0ELb0EfPKPfLi16ELi16EEviT3_ilPT2_i.has_dyn_sized_stack, 0
	.set _ZL40rocblas_copy_triangular_syrk_herk_kernelILb0ELb0ELb0EfPKPfLi16ELi16EEviT3_ilPT2_i.has_recursion, 0
	.set _ZL40rocblas_copy_triangular_syrk_herk_kernelILb0ELb0ELb0EfPKPfLi16ELi16EEviT3_ilPT2_i.has_indirect_call, 0
	.section	.AMDGPU.csdata,"",@progbits
; Kernel info:
; codeLenInByte = 328
; TotalNumSgprs: 14
; NumVgprs: 6
; ScratchSize: 0
; MemoryBound: 0
; FloatMode: 240
; IeeeMode: 1
; LDSByteSize: 0 bytes/workgroup (compile time only)
; SGPRBlocks: 1
; VGPRBlocks: 1
; NumSGPRsForWavesPerEU: 14
; NumVGPRsForWavesPerEU: 6
; Occupancy: 10
; WaveLimiterHint : 1
; COMPUTE_PGM_RSRC2:SCRATCH_EN: 0
; COMPUTE_PGM_RSRC2:USER_SGPR: 6
; COMPUTE_PGM_RSRC2:TRAP_HANDLER: 0
; COMPUTE_PGM_RSRC2:TGID_X_EN: 1
; COMPUTE_PGM_RSRC2:TGID_Y_EN: 1
; COMPUTE_PGM_RSRC2:TGID_Z_EN: 1
; COMPUTE_PGM_RSRC2:TIDIG_COMP_CNT: 1
	.section	.text._ZL40rocblas_copy_triangular_syrk_herk_kernelILb1ELb1ELb0EdPKPdLi16ELi16EEviT3_ilPT2_i,"axG",@progbits,_ZL40rocblas_copy_triangular_syrk_herk_kernelILb1ELb1ELb0EdPKPdLi16ELi16EEviT3_ilPT2_i,comdat
	.globl	_ZL40rocblas_copy_triangular_syrk_herk_kernelILb1ELb1ELb0EdPKPdLi16ELi16EEviT3_ilPT2_i ; -- Begin function _ZL40rocblas_copy_triangular_syrk_herk_kernelILb1ELb1ELb0EdPKPdLi16ELi16EEviT3_ilPT2_i
	.p2align	8
	.type	_ZL40rocblas_copy_triangular_syrk_herk_kernelILb1ELb1ELb0EdPKPdLi16ELi16EEviT3_ilPT2_i,@function
_ZL40rocblas_copy_triangular_syrk_herk_kernelILb1ELb1ELb0EdPKPdLi16ELi16EEviT3_ilPT2_i: ; @_ZL40rocblas_copy_triangular_syrk_herk_kernelILb1ELb1ELb0EdPKPdLi16ELi16EEviT3_ilPT2_i
; %bb.0:
	s_load_dword s0, s[4:5], 0x3c
	s_load_dword s2, s[4:5], 0x0
	s_waitcnt lgkmcnt(0)
	s_lshr_b32 s1, s0, 16
	s_and_b32 s0, s0, 0xffff
	s_mul_i32 s7, s7, s1
	s_mul_i32 s6, s6, s0
	v_add_u32_e32 v1, s7, v1
	v_add_u32_e32 v0, s6, v0
	v_max_i32_e32 v2, v1, v0
	v_cmp_gt_i32_e32 vcc, s2, v2
	v_cmp_gt_i32_e64 s[0:1], v1, v0
	s_and_b64 s[0:1], s[0:1], vcc
	s_and_saveexec_b64 s[6:7], s[0:1]
	s_cbranch_execz .LBB20_2
; %bb.1:
	s_add_i32 s3, s2, -1
	s_load_dwordx2 s[0:1], s[4:5], 0x8
	s_load_dword s10, s[4:5], 0x10
	s_load_dwordx2 s[6:7], s[4:5], 0x20
	s_mul_hi_i32 s4, s3, s2
	s_mul_i32 s3, s3, s2
	s_lshr_b32 s2, s4, 31
	s_add_u32 s2, s3, s2
	s_addc_u32 s3, s4, 0
	s_ashr_i64 s[2:3], s[2:3], 1
	s_mul_i32 s3, s3, s8
	s_mul_hi_u32 s4, s2, s8
	s_add_i32 s3, s4, s3
	s_mul_i32 s2, s2, s8
	s_lshl_b64 s[2:3], s[2:3], 3
	s_mov_b32 s9, 0
	s_waitcnt lgkmcnt(0)
	s_add_u32 s4, s6, s2
	s_addc_u32 s5, s7, s3
	s_lshl_b64 s[2:3], s[8:9], 3
	s_add_u32 s0, s0, s2
	s_addc_u32 s1, s1, s3
	v_mad_i64_i32 v[3:4], s[2:3], v0, s10, 0
	s_load_dwordx2 s[0:1], s[0:1], 0x0
	v_ashrrev_i32_e32 v2, 31, v1
	v_lshlrev_b64 v[3:4], 3, v[3:4]
	s_waitcnt lgkmcnt(0)
	v_mov_b32_e32 v5, s1
	v_add_co_u32_e32 v6, vcc, s0, v3
	v_lshlrev_b64 v[2:3], 3, v[1:2]
	v_addc_co_u32_e32 v4, vcc, v5, v4, vcc
	v_add_co_u32_e32 v2, vcc, v6, v2
	v_addc_co_u32_e32 v3, vcc, v4, v3, vcc
	flat_load_dwordx2 v[2:3], v[2:3]
	v_add_u32_e32 v4, -1, v1
	v_mul_lo_u32 v1, v4, v1
	v_lshrrev_b32_e32 v4, 31, v1
	v_add_u32_e32 v1, v1, v4
	v_ashrrev_i32_e32 v1, 1, v1
	v_add_u32_e32 v0, v1, v0
	v_ashrrev_i32_e32 v1, 31, v0
	v_lshlrev_b64 v[0:1], 3, v[0:1]
	v_mov_b32_e32 v4, s5
	v_add_co_u32_e32 v0, vcc, s4, v0
	v_addc_co_u32_e32 v1, vcc, v4, v1, vcc
	s_waitcnt vmcnt(0) lgkmcnt(0)
	global_store_dwordx2 v[0:1], v[2:3], off
.LBB20_2:
	s_endpgm
	.section	.rodata,"a",@progbits
	.p2align	6, 0x0
	.amdhsa_kernel _ZL40rocblas_copy_triangular_syrk_herk_kernelILb1ELb1ELb0EdPKPdLi16ELi16EEviT3_ilPT2_i
		.amdhsa_group_segment_fixed_size 0
		.amdhsa_private_segment_fixed_size 0
		.amdhsa_kernarg_size 304
		.amdhsa_user_sgpr_count 6
		.amdhsa_user_sgpr_private_segment_buffer 1
		.amdhsa_user_sgpr_dispatch_ptr 0
		.amdhsa_user_sgpr_queue_ptr 0
		.amdhsa_user_sgpr_kernarg_segment_ptr 1
		.amdhsa_user_sgpr_dispatch_id 0
		.amdhsa_user_sgpr_flat_scratch_init 0
		.amdhsa_user_sgpr_private_segment_size 0
		.amdhsa_uses_dynamic_stack 0
		.amdhsa_system_sgpr_private_segment_wavefront_offset 0
		.amdhsa_system_sgpr_workgroup_id_x 1
		.amdhsa_system_sgpr_workgroup_id_y 1
		.amdhsa_system_sgpr_workgroup_id_z 1
		.amdhsa_system_sgpr_workgroup_info 0
		.amdhsa_system_vgpr_workitem_id 1
		.amdhsa_next_free_vgpr 7
		.amdhsa_next_free_sgpr 11
		.amdhsa_reserve_vcc 1
		.amdhsa_reserve_flat_scratch 0
		.amdhsa_float_round_mode_32 0
		.amdhsa_float_round_mode_16_64 0
		.amdhsa_float_denorm_mode_32 3
		.amdhsa_float_denorm_mode_16_64 3
		.amdhsa_dx10_clamp 1
		.amdhsa_ieee_mode 1
		.amdhsa_fp16_overflow 0
		.amdhsa_exception_fp_ieee_invalid_op 0
		.amdhsa_exception_fp_denorm_src 0
		.amdhsa_exception_fp_ieee_div_zero 0
		.amdhsa_exception_fp_ieee_overflow 0
		.amdhsa_exception_fp_ieee_underflow 0
		.amdhsa_exception_fp_ieee_inexact 0
		.amdhsa_exception_int_div_zero 0
	.end_amdhsa_kernel
	.section	.text._ZL40rocblas_copy_triangular_syrk_herk_kernelILb1ELb1ELb0EdPKPdLi16ELi16EEviT3_ilPT2_i,"axG",@progbits,_ZL40rocblas_copy_triangular_syrk_herk_kernelILb1ELb1ELb0EdPKPdLi16ELi16EEviT3_ilPT2_i,comdat
.Lfunc_end20:
	.size	_ZL40rocblas_copy_triangular_syrk_herk_kernelILb1ELb1ELb0EdPKPdLi16ELi16EEviT3_ilPT2_i, .Lfunc_end20-_ZL40rocblas_copy_triangular_syrk_herk_kernelILb1ELb1ELb0EdPKPdLi16ELi16EEviT3_ilPT2_i
                                        ; -- End function
	.set _ZL40rocblas_copy_triangular_syrk_herk_kernelILb1ELb1ELb0EdPKPdLi16ELi16EEviT3_ilPT2_i.num_vgpr, 7
	.set _ZL40rocblas_copy_triangular_syrk_herk_kernelILb1ELb1ELb0EdPKPdLi16ELi16EEviT3_ilPT2_i.num_agpr, 0
	.set _ZL40rocblas_copy_triangular_syrk_herk_kernelILb1ELb1ELb0EdPKPdLi16ELi16EEviT3_ilPT2_i.numbered_sgpr, 11
	.set _ZL40rocblas_copy_triangular_syrk_herk_kernelILb1ELb1ELb0EdPKPdLi16ELi16EEviT3_ilPT2_i.num_named_barrier, 0
	.set _ZL40rocblas_copy_triangular_syrk_herk_kernelILb1ELb1ELb0EdPKPdLi16ELi16EEviT3_ilPT2_i.private_seg_size, 0
	.set _ZL40rocblas_copy_triangular_syrk_herk_kernelILb1ELb1ELb0EdPKPdLi16ELi16EEviT3_ilPT2_i.uses_vcc, 1
	.set _ZL40rocblas_copy_triangular_syrk_herk_kernelILb1ELb1ELb0EdPKPdLi16ELi16EEviT3_ilPT2_i.uses_flat_scratch, 0
	.set _ZL40rocblas_copy_triangular_syrk_herk_kernelILb1ELb1ELb0EdPKPdLi16ELi16EEviT3_ilPT2_i.has_dyn_sized_stack, 0
	.set _ZL40rocblas_copy_triangular_syrk_herk_kernelILb1ELb1ELb0EdPKPdLi16ELi16EEviT3_ilPT2_i.has_recursion, 0
	.set _ZL40rocblas_copy_triangular_syrk_herk_kernelILb1ELb1ELb0EdPKPdLi16ELi16EEviT3_ilPT2_i.has_indirect_call, 0
	.section	.AMDGPU.csdata,"",@progbits
; Kernel info:
; codeLenInByte = 312
; TotalNumSgprs: 15
; NumVgprs: 7
; ScratchSize: 0
; MemoryBound: 0
; FloatMode: 240
; IeeeMode: 1
; LDSByteSize: 0 bytes/workgroup (compile time only)
; SGPRBlocks: 1
; VGPRBlocks: 1
; NumSGPRsForWavesPerEU: 15
; NumVGPRsForWavesPerEU: 7
; Occupancy: 10
; WaveLimiterHint : 1
; COMPUTE_PGM_RSRC2:SCRATCH_EN: 0
; COMPUTE_PGM_RSRC2:USER_SGPR: 6
; COMPUTE_PGM_RSRC2:TRAP_HANDLER: 0
; COMPUTE_PGM_RSRC2:TGID_X_EN: 1
; COMPUTE_PGM_RSRC2:TGID_Y_EN: 1
; COMPUTE_PGM_RSRC2:TGID_Z_EN: 1
; COMPUTE_PGM_RSRC2:TIDIG_COMP_CNT: 1
	.section	.text._ZL40rocblas_copy_triangular_syrk_herk_kernelILb1ELb0ELb0EdPKPdLi16ELi16EEviT3_ilPT2_i,"axG",@progbits,_ZL40rocblas_copy_triangular_syrk_herk_kernelILb1ELb0ELb0EdPKPdLi16ELi16EEviT3_ilPT2_i,comdat
	.globl	_ZL40rocblas_copy_triangular_syrk_herk_kernelILb1ELb0ELb0EdPKPdLi16ELi16EEviT3_ilPT2_i ; -- Begin function _ZL40rocblas_copy_triangular_syrk_herk_kernelILb1ELb0ELb0EdPKPdLi16ELi16EEviT3_ilPT2_i
	.p2align	8
	.type	_ZL40rocblas_copy_triangular_syrk_herk_kernelILb1ELb0ELb0EdPKPdLi16ELi16EEviT3_ilPT2_i,@function
_ZL40rocblas_copy_triangular_syrk_herk_kernelILb1ELb0ELb0EdPKPdLi16ELi16EEviT3_ilPT2_i: ; @_ZL40rocblas_copy_triangular_syrk_herk_kernelILb1ELb0ELb0EdPKPdLi16ELi16EEviT3_ilPT2_i
; %bb.0:
	s_load_dword s0, s[4:5], 0x3c
	s_load_dword s2, s[4:5], 0x0
	s_waitcnt lgkmcnt(0)
	s_lshr_b32 s1, s0, 16
	s_and_b32 s0, s0, 0xffff
	s_mul_i32 s7, s7, s1
	s_mul_i32 s6, s6, s0
	v_add_u32_e32 v1, s7, v1
	v_add_u32_e32 v0, s6, v0
	v_max_i32_e32 v2, v1, v0
	v_cmp_gt_i32_e32 vcc, s2, v2
	v_cmp_lt_i32_e64 s[0:1], v1, v0
	s_and_b64 s[0:1], s[0:1], vcc
	s_and_saveexec_b64 s[6:7], s[0:1]
	s_cbranch_execz .LBB21_2
; %bb.1:
	s_load_dwordx2 s[0:1], s[4:5], 0x8
	s_load_dword s3, s[4:5], 0x10
	s_load_dwordx2 s[6:7], s[4:5], 0x20
	s_add_i32 s4, s2, -1
	s_mul_hi_i32 s5, s4, s2
	s_mul_i32 s4, s4, s2
	s_lshr_b32 s10, s5, 31
	s_add_u32 s4, s4, s10
	s_addc_u32 s5, s5, 0
	s_ashr_i64 s[4:5], s[4:5], 1
	s_mul_i32 s5, s5, s8
	s_mul_hi_u32 s10, s4, s8
	s_add_i32 s5, s10, s5
	s_mul_i32 s4, s4, s8
	s_lshl_b64 s[4:5], s[4:5], 3
	s_mov_b32 s9, 0
	s_waitcnt lgkmcnt(0)
	s_add_u32 s6, s6, s4
	s_addc_u32 s7, s7, s5
	s_lshl_b64 s[4:5], s[8:9], 3
	s_add_u32 s0, s0, s4
	s_addc_u32 s1, s1, s5
	v_mad_i64_i32 v[3:4], s[4:5], v0, s3, 0
	s_load_dwordx2 s[0:1], s[0:1], 0x0
	v_ashrrev_i32_e32 v2, 31, v1
	v_lshlrev_b64 v[3:4], 3, v[3:4]
	s_waitcnt lgkmcnt(0)
	v_mov_b32_e32 v5, s1
	v_add_co_u32_e32 v6, vcc, s0, v3
	v_lshlrev_b64 v[2:3], 3, v[1:2]
	v_addc_co_u32_e32 v4, vcc, v5, v4, vcc
	v_add_co_u32_e32 v2, vcc, v6, v2
	v_addc_co_u32_e32 v3, vcc, v4, v3, vcc
	flat_load_dwordx2 v[2:3], v[2:3]
	v_not_b32_e32 v4, v1
	v_lshl_add_u32 v5, s2, 1, v4
	v_mul_lo_u32 v1, v5, v1
	v_lshrrev_b32_e32 v5, 31, v1
	v_add_u32_e32 v1, v1, v5
	v_ashrrev_i32_e32 v1, 1, v1
	v_add3_u32 v0, v0, v4, v1
	v_ashrrev_i32_e32 v1, 31, v0
	v_lshlrev_b64 v[0:1], 3, v[0:1]
	v_mov_b32_e32 v4, s7
	v_add_co_u32_e32 v0, vcc, s6, v0
	v_addc_co_u32_e32 v1, vcc, v4, v1, vcc
	s_waitcnt vmcnt(0) lgkmcnt(0)
	global_store_dwordx2 v[0:1], v[2:3], off
.LBB21_2:
	s_endpgm
	.section	.rodata,"a",@progbits
	.p2align	6, 0x0
	.amdhsa_kernel _ZL40rocblas_copy_triangular_syrk_herk_kernelILb1ELb0ELb0EdPKPdLi16ELi16EEviT3_ilPT2_i
		.amdhsa_group_segment_fixed_size 0
		.amdhsa_private_segment_fixed_size 0
		.amdhsa_kernarg_size 304
		.amdhsa_user_sgpr_count 6
		.amdhsa_user_sgpr_private_segment_buffer 1
		.amdhsa_user_sgpr_dispatch_ptr 0
		.amdhsa_user_sgpr_queue_ptr 0
		.amdhsa_user_sgpr_kernarg_segment_ptr 1
		.amdhsa_user_sgpr_dispatch_id 0
		.amdhsa_user_sgpr_flat_scratch_init 0
		.amdhsa_user_sgpr_private_segment_size 0
		.amdhsa_uses_dynamic_stack 0
		.amdhsa_system_sgpr_private_segment_wavefront_offset 0
		.amdhsa_system_sgpr_workgroup_id_x 1
		.amdhsa_system_sgpr_workgroup_id_y 1
		.amdhsa_system_sgpr_workgroup_id_z 1
		.amdhsa_system_sgpr_workgroup_info 0
		.amdhsa_system_vgpr_workitem_id 1
		.amdhsa_next_free_vgpr 7
		.amdhsa_next_free_sgpr 11
		.amdhsa_reserve_vcc 1
		.amdhsa_reserve_flat_scratch 0
		.amdhsa_float_round_mode_32 0
		.amdhsa_float_round_mode_16_64 0
		.amdhsa_float_denorm_mode_32 3
		.amdhsa_float_denorm_mode_16_64 3
		.amdhsa_dx10_clamp 1
		.amdhsa_ieee_mode 1
		.amdhsa_fp16_overflow 0
		.amdhsa_exception_fp_ieee_invalid_op 0
		.amdhsa_exception_fp_denorm_src 0
		.amdhsa_exception_fp_ieee_div_zero 0
		.amdhsa_exception_fp_ieee_overflow 0
		.amdhsa_exception_fp_ieee_underflow 0
		.amdhsa_exception_fp_ieee_inexact 0
		.amdhsa_exception_int_div_zero 0
	.end_amdhsa_kernel
	.section	.text._ZL40rocblas_copy_triangular_syrk_herk_kernelILb1ELb0ELb0EdPKPdLi16ELi16EEviT3_ilPT2_i,"axG",@progbits,_ZL40rocblas_copy_triangular_syrk_herk_kernelILb1ELb0ELb0EdPKPdLi16ELi16EEviT3_ilPT2_i,comdat
.Lfunc_end21:
	.size	_ZL40rocblas_copy_triangular_syrk_herk_kernelILb1ELb0ELb0EdPKPdLi16ELi16EEviT3_ilPT2_i, .Lfunc_end21-_ZL40rocblas_copy_triangular_syrk_herk_kernelILb1ELb0ELb0EdPKPdLi16ELi16EEviT3_ilPT2_i
                                        ; -- End function
	.set _ZL40rocblas_copy_triangular_syrk_herk_kernelILb1ELb0ELb0EdPKPdLi16ELi16EEviT3_ilPT2_i.num_vgpr, 7
	.set _ZL40rocblas_copy_triangular_syrk_herk_kernelILb1ELb0ELb0EdPKPdLi16ELi16EEviT3_ilPT2_i.num_agpr, 0
	.set _ZL40rocblas_copy_triangular_syrk_herk_kernelILb1ELb0ELb0EdPKPdLi16ELi16EEviT3_ilPT2_i.numbered_sgpr, 11
	.set _ZL40rocblas_copy_triangular_syrk_herk_kernelILb1ELb0ELb0EdPKPdLi16ELi16EEviT3_ilPT2_i.num_named_barrier, 0
	.set _ZL40rocblas_copy_triangular_syrk_herk_kernelILb1ELb0ELb0EdPKPdLi16ELi16EEviT3_ilPT2_i.private_seg_size, 0
	.set _ZL40rocblas_copy_triangular_syrk_herk_kernelILb1ELb0ELb0EdPKPdLi16ELi16EEviT3_ilPT2_i.uses_vcc, 1
	.set _ZL40rocblas_copy_triangular_syrk_herk_kernelILb1ELb0ELb0EdPKPdLi16ELi16EEviT3_ilPT2_i.uses_flat_scratch, 0
	.set _ZL40rocblas_copy_triangular_syrk_herk_kernelILb1ELb0ELb0EdPKPdLi16ELi16EEviT3_ilPT2_i.has_dyn_sized_stack, 0
	.set _ZL40rocblas_copy_triangular_syrk_herk_kernelILb1ELb0ELb0EdPKPdLi16ELi16EEviT3_ilPT2_i.has_recursion, 0
	.set _ZL40rocblas_copy_triangular_syrk_herk_kernelILb1ELb0ELb0EdPKPdLi16ELi16EEviT3_ilPT2_i.has_indirect_call, 0
	.section	.AMDGPU.csdata,"",@progbits
; Kernel info:
; codeLenInByte = 324
; TotalNumSgprs: 15
; NumVgprs: 7
; ScratchSize: 0
; MemoryBound: 0
; FloatMode: 240
; IeeeMode: 1
; LDSByteSize: 0 bytes/workgroup (compile time only)
; SGPRBlocks: 1
; VGPRBlocks: 1
; NumSGPRsForWavesPerEU: 15
; NumVGPRsForWavesPerEU: 7
; Occupancy: 10
; WaveLimiterHint : 1
; COMPUTE_PGM_RSRC2:SCRATCH_EN: 0
; COMPUTE_PGM_RSRC2:USER_SGPR: 6
; COMPUTE_PGM_RSRC2:TRAP_HANDLER: 0
; COMPUTE_PGM_RSRC2:TGID_X_EN: 1
; COMPUTE_PGM_RSRC2:TGID_Y_EN: 1
; COMPUTE_PGM_RSRC2:TGID_Z_EN: 1
; COMPUTE_PGM_RSRC2:TIDIG_COMP_CNT: 1
	.section	.text._ZL40rocblas_copy_triangular_syrk_herk_kernelILb0ELb1ELb0EdPKPdLi16ELi16EEviT3_ilPT2_i,"axG",@progbits,_ZL40rocblas_copy_triangular_syrk_herk_kernelILb0ELb1ELb0EdPKPdLi16ELi16EEviT3_ilPT2_i,comdat
	.globl	_ZL40rocblas_copy_triangular_syrk_herk_kernelILb0ELb1ELb0EdPKPdLi16ELi16EEviT3_ilPT2_i ; -- Begin function _ZL40rocblas_copy_triangular_syrk_herk_kernelILb0ELb1ELb0EdPKPdLi16ELi16EEviT3_ilPT2_i
	.p2align	8
	.type	_ZL40rocblas_copy_triangular_syrk_herk_kernelILb0ELb1ELb0EdPKPdLi16ELi16EEviT3_ilPT2_i,@function
_ZL40rocblas_copy_triangular_syrk_herk_kernelILb0ELb1ELb0EdPKPdLi16ELi16EEviT3_ilPT2_i: ; @_ZL40rocblas_copy_triangular_syrk_herk_kernelILb0ELb1ELb0EdPKPdLi16ELi16EEviT3_ilPT2_i
; %bb.0:
	s_load_dword s0, s[4:5], 0x3c
	s_load_dword s2, s[4:5], 0x0
	s_waitcnt lgkmcnt(0)
	s_lshr_b32 s1, s0, 16
	s_and_b32 s0, s0, 0xffff
	s_mul_i32 s7, s7, s1
	s_mul_i32 s6, s6, s0
	v_add_u32_e32 v1, s7, v1
	v_add_u32_e32 v0, s6, v0
	v_max_i32_e32 v2, v1, v0
	v_cmp_gt_i32_e32 vcc, s2, v2
	v_cmp_gt_i32_e64 s[0:1], v1, v0
	s_and_b64 s[0:1], s[0:1], vcc
	s_and_saveexec_b64 s[6:7], s[0:1]
	s_cbranch_execz .LBB22_2
; %bb.1:
	v_add_u32_e32 v2, -1, v1
	s_add_i32 s3, s2, -1
	v_mul_lo_u32 v2, v2, v1
	s_mul_hi_i32 s6, s3, s2
	s_mul_i32 s3, s3, s2
	s_lshr_b32 s2, s6, 31
	s_add_u32 s2, s3, s2
	s_load_dwordx2 s[0:1], s[4:5], 0x20
	s_addc_u32 s3, s6, 0
	v_lshrrev_b32_e32 v3, 31, v2
	s_ashr_i64 s[2:3], s[2:3], 1
	v_add_u32_e32 v2, v2, v3
	s_mul_i32 s3, s3, s8
	s_mul_hi_u32 s6, s2, s8
	v_ashrrev_i32_e32 v2, 1, v2
	s_add_i32 s3, s6, s3
	s_mul_i32 s2, s2, s8
	v_add_u32_e32 v2, v2, v0
	s_lshl_b64 s[2:3], s[2:3], 3
	v_ashrrev_i32_e32 v3, 31, v2
	s_waitcnt lgkmcnt(0)
	s_add_u32 s0, s0, s2
	v_lshlrev_b64 v[2:3], 3, v[2:3]
	s_addc_u32 s1, s1, s3
	v_mov_b32_e32 v4, s1
	v_add_co_u32_e32 v2, vcc, s0, v2
	v_addc_co_u32_e32 v3, vcc, v4, v3, vcc
	global_load_dwordx2 v[3:4], v[2:3], off
	s_load_dwordx2 s[0:1], s[4:5], 0x8
	s_load_dword s6, s[4:5], 0x10
	s_mov_b32 s9, 0
	s_lshl_b64 s[2:3], s[8:9], 3
	v_ashrrev_i32_e32 v2, 31, v1
	s_waitcnt lgkmcnt(0)
	s_add_u32 s0, s0, s2
	s_addc_u32 s1, s1, s3
	v_mad_i64_i32 v[5:6], s[2:3], v0, s6, 0
	s_load_dwordx2 s[0:1], s[0:1], 0x0
	v_lshlrev_b64 v[5:6], 3, v[5:6]
	s_waitcnt lgkmcnt(0)
	v_mov_b32_e32 v0, s1
	v_add_co_u32_e32 v5, vcc, s0, v5
	v_addc_co_u32_e32 v6, vcc, v0, v6, vcc
	v_lshlrev_b64 v[0:1], 3, v[1:2]
	v_add_co_u32_e32 v0, vcc, v5, v0
	v_addc_co_u32_e32 v1, vcc, v6, v1, vcc
	s_waitcnt vmcnt(0)
	flat_store_dwordx2 v[0:1], v[3:4]
.LBB22_2:
	s_endpgm
	.section	.rodata,"a",@progbits
	.p2align	6, 0x0
	.amdhsa_kernel _ZL40rocblas_copy_triangular_syrk_herk_kernelILb0ELb1ELb0EdPKPdLi16ELi16EEviT3_ilPT2_i
		.amdhsa_group_segment_fixed_size 0
		.amdhsa_private_segment_fixed_size 0
		.amdhsa_kernarg_size 304
		.amdhsa_user_sgpr_count 6
		.amdhsa_user_sgpr_private_segment_buffer 1
		.amdhsa_user_sgpr_dispatch_ptr 0
		.amdhsa_user_sgpr_queue_ptr 0
		.amdhsa_user_sgpr_kernarg_segment_ptr 1
		.amdhsa_user_sgpr_dispatch_id 0
		.amdhsa_user_sgpr_flat_scratch_init 0
		.amdhsa_user_sgpr_private_segment_size 0
		.amdhsa_uses_dynamic_stack 0
		.amdhsa_system_sgpr_private_segment_wavefront_offset 0
		.amdhsa_system_sgpr_workgroup_id_x 1
		.amdhsa_system_sgpr_workgroup_id_y 1
		.amdhsa_system_sgpr_workgroup_id_z 1
		.amdhsa_system_sgpr_workgroup_info 0
		.amdhsa_system_vgpr_workitem_id 1
		.amdhsa_next_free_vgpr 7
		.amdhsa_next_free_sgpr 10
		.amdhsa_reserve_vcc 1
		.amdhsa_reserve_flat_scratch 0
		.amdhsa_float_round_mode_32 0
		.amdhsa_float_round_mode_16_64 0
		.amdhsa_float_denorm_mode_32 3
		.amdhsa_float_denorm_mode_16_64 3
		.amdhsa_dx10_clamp 1
		.amdhsa_ieee_mode 1
		.amdhsa_fp16_overflow 0
		.amdhsa_exception_fp_ieee_invalid_op 0
		.amdhsa_exception_fp_denorm_src 0
		.amdhsa_exception_fp_ieee_div_zero 0
		.amdhsa_exception_fp_ieee_overflow 0
		.amdhsa_exception_fp_ieee_underflow 0
		.amdhsa_exception_fp_ieee_inexact 0
		.amdhsa_exception_int_div_zero 0
	.end_amdhsa_kernel
	.section	.text._ZL40rocblas_copy_triangular_syrk_herk_kernelILb0ELb1ELb0EdPKPdLi16ELi16EEviT3_ilPT2_i,"axG",@progbits,_ZL40rocblas_copy_triangular_syrk_herk_kernelILb0ELb1ELb0EdPKPdLi16ELi16EEviT3_ilPT2_i,comdat
.Lfunc_end22:
	.size	_ZL40rocblas_copy_triangular_syrk_herk_kernelILb0ELb1ELb0EdPKPdLi16ELi16EEviT3_ilPT2_i, .Lfunc_end22-_ZL40rocblas_copy_triangular_syrk_herk_kernelILb0ELb1ELb0EdPKPdLi16ELi16EEviT3_ilPT2_i
                                        ; -- End function
	.set _ZL40rocblas_copy_triangular_syrk_herk_kernelILb0ELb1ELb0EdPKPdLi16ELi16EEviT3_ilPT2_i.num_vgpr, 7
	.set _ZL40rocblas_copy_triangular_syrk_herk_kernelILb0ELb1ELb0EdPKPdLi16ELi16EEviT3_ilPT2_i.num_agpr, 0
	.set _ZL40rocblas_copy_triangular_syrk_herk_kernelILb0ELb1ELb0EdPKPdLi16ELi16EEviT3_ilPT2_i.numbered_sgpr, 10
	.set _ZL40rocblas_copy_triangular_syrk_herk_kernelILb0ELb1ELb0EdPKPdLi16ELi16EEviT3_ilPT2_i.num_named_barrier, 0
	.set _ZL40rocblas_copy_triangular_syrk_herk_kernelILb0ELb1ELb0EdPKPdLi16ELi16EEviT3_ilPT2_i.private_seg_size, 0
	.set _ZL40rocblas_copy_triangular_syrk_herk_kernelILb0ELb1ELb0EdPKPdLi16ELi16EEviT3_ilPT2_i.uses_vcc, 1
	.set _ZL40rocblas_copy_triangular_syrk_herk_kernelILb0ELb1ELb0EdPKPdLi16ELi16EEviT3_ilPT2_i.uses_flat_scratch, 0
	.set _ZL40rocblas_copy_triangular_syrk_herk_kernelILb0ELb1ELb0EdPKPdLi16ELi16EEviT3_ilPT2_i.has_dyn_sized_stack, 0
	.set _ZL40rocblas_copy_triangular_syrk_herk_kernelILb0ELb1ELb0EdPKPdLi16ELi16EEviT3_ilPT2_i.has_recursion, 0
	.set _ZL40rocblas_copy_triangular_syrk_herk_kernelILb0ELb1ELb0EdPKPdLi16ELi16EEviT3_ilPT2_i.has_indirect_call, 0
	.section	.AMDGPU.csdata,"",@progbits
; Kernel info:
; codeLenInByte = 316
; TotalNumSgprs: 14
; NumVgprs: 7
; ScratchSize: 0
; MemoryBound: 0
; FloatMode: 240
; IeeeMode: 1
; LDSByteSize: 0 bytes/workgroup (compile time only)
; SGPRBlocks: 1
; VGPRBlocks: 1
; NumSGPRsForWavesPerEU: 14
; NumVGPRsForWavesPerEU: 7
; Occupancy: 10
; WaveLimiterHint : 1
; COMPUTE_PGM_RSRC2:SCRATCH_EN: 0
; COMPUTE_PGM_RSRC2:USER_SGPR: 6
; COMPUTE_PGM_RSRC2:TRAP_HANDLER: 0
; COMPUTE_PGM_RSRC2:TGID_X_EN: 1
; COMPUTE_PGM_RSRC2:TGID_Y_EN: 1
; COMPUTE_PGM_RSRC2:TGID_Z_EN: 1
; COMPUTE_PGM_RSRC2:TIDIG_COMP_CNT: 1
	.section	.text._ZL40rocblas_copy_triangular_syrk_herk_kernelILb0ELb0ELb0EdPKPdLi16ELi16EEviT3_ilPT2_i,"axG",@progbits,_ZL40rocblas_copy_triangular_syrk_herk_kernelILb0ELb0ELb0EdPKPdLi16ELi16EEviT3_ilPT2_i,comdat
	.globl	_ZL40rocblas_copy_triangular_syrk_herk_kernelILb0ELb0ELb0EdPKPdLi16ELi16EEviT3_ilPT2_i ; -- Begin function _ZL40rocblas_copy_triangular_syrk_herk_kernelILb0ELb0ELb0EdPKPdLi16ELi16EEviT3_ilPT2_i
	.p2align	8
	.type	_ZL40rocblas_copy_triangular_syrk_herk_kernelILb0ELb0ELb0EdPKPdLi16ELi16EEviT3_ilPT2_i,@function
_ZL40rocblas_copy_triangular_syrk_herk_kernelILb0ELb0ELb0EdPKPdLi16ELi16EEviT3_ilPT2_i: ; @_ZL40rocblas_copy_triangular_syrk_herk_kernelILb0ELb0ELb0EdPKPdLi16ELi16EEviT3_ilPT2_i
; %bb.0:
	s_load_dword s0, s[4:5], 0x3c
	s_load_dword s2, s[4:5], 0x0
	s_waitcnt lgkmcnt(0)
	s_lshr_b32 s1, s0, 16
	s_and_b32 s0, s0, 0xffff
	s_mul_i32 s7, s7, s1
	s_mul_i32 s6, s6, s0
	v_add_u32_e32 v1, s7, v1
	v_add_u32_e32 v0, s6, v0
	v_max_i32_e32 v2, v1, v0
	v_cmp_gt_i32_e32 vcc, s2, v2
	v_cmp_lt_i32_e64 s[0:1], v1, v0
	s_and_b64 s[0:1], s[0:1], vcc
	s_and_saveexec_b64 s[6:7], s[0:1]
	s_cbranch_execz .LBB23_2
; %bb.1:
	v_not_b32_e32 v2, v1
	v_lshl_add_u32 v3, s2, 1, v2
	s_add_i32 s3, s2, -1
	v_mul_lo_u32 v3, v3, v1
	s_mul_hi_i32 s7, s3, s2
	s_mul_i32 s3, s3, s2
	s_lshr_b32 s6, s7, 31
	s_add_u32 s6, s3, s6
	s_load_dwordx2 s[0:1], s[4:5], 0x20
	s_addc_u32 s7, s7, 0
	v_lshrrev_b32_e32 v4, 31, v3
	s_ashr_i64 s[6:7], s[6:7], 1
	v_add_u32_e32 v3, v3, v4
	s_mul_i32 s3, s7, s8
	s_mul_hi_u32 s7, s6, s8
	v_ashrrev_i32_e32 v3, 1, v3
	s_add_i32 s7, s7, s3
	s_mul_i32 s6, s6, s8
	v_add3_u32 v2, v0, v2, v3
	s_lshl_b64 s[2:3], s[6:7], 3
	v_ashrrev_i32_e32 v3, 31, v2
	s_waitcnt lgkmcnt(0)
	s_add_u32 s0, s0, s2
	v_lshlrev_b64 v[2:3], 3, v[2:3]
	s_addc_u32 s1, s1, s3
	v_mov_b32_e32 v4, s1
	v_add_co_u32_e32 v2, vcc, s0, v2
	v_addc_co_u32_e32 v3, vcc, v4, v3, vcc
	global_load_dwordx2 v[3:4], v[2:3], off
	s_load_dwordx2 s[0:1], s[4:5], 0x8
	s_load_dword s6, s[4:5], 0x10
	s_mov_b32 s9, 0
	s_lshl_b64 s[2:3], s[8:9], 3
	v_ashrrev_i32_e32 v2, 31, v1
	s_waitcnt lgkmcnt(0)
	s_add_u32 s0, s0, s2
	s_addc_u32 s1, s1, s3
	v_mad_i64_i32 v[5:6], s[2:3], v0, s6, 0
	s_load_dwordx2 s[0:1], s[0:1], 0x0
	v_lshlrev_b64 v[5:6], 3, v[5:6]
	s_waitcnt lgkmcnt(0)
	v_mov_b32_e32 v0, s1
	v_add_co_u32_e32 v5, vcc, s0, v5
	v_addc_co_u32_e32 v6, vcc, v0, v6, vcc
	v_lshlrev_b64 v[0:1], 3, v[1:2]
	v_add_co_u32_e32 v0, vcc, v5, v0
	v_addc_co_u32_e32 v1, vcc, v6, v1, vcc
	s_waitcnt vmcnt(0)
	flat_store_dwordx2 v[0:1], v[3:4]
.LBB23_2:
	s_endpgm
	.section	.rodata,"a",@progbits
	.p2align	6, 0x0
	.amdhsa_kernel _ZL40rocblas_copy_triangular_syrk_herk_kernelILb0ELb0ELb0EdPKPdLi16ELi16EEviT3_ilPT2_i
		.amdhsa_group_segment_fixed_size 0
		.amdhsa_private_segment_fixed_size 0
		.amdhsa_kernarg_size 304
		.amdhsa_user_sgpr_count 6
		.amdhsa_user_sgpr_private_segment_buffer 1
		.amdhsa_user_sgpr_dispatch_ptr 0
		.amdhsa_user_sgpr_queue_ptr 0
		.amdhsa_user_sgpr_kernarg_segment_ptr 1
		.amdhsa_user_sgpr_dispatch_id 0
		.amdhsa_user_sgpr_flat_scratch_init 0
		.amdhsa_user_sgpr_private_segment_size 0
		.amdhsa_uses_dynamic_stack 0
		.amdhsa_system_sgpr_private_segment_wavefront_offset 0
		.amdhsa_system_sgpr_workgroup_id_x 1
		.amdhsa_system_sgpr_workgroup_id_y 1
		.amdhsa_system_sgpr_workgroup_id_z 1
		.amdhsa_system_sgpr_workgroup_info 0
		.amdhsa_system_vgpr_workitem_id 1
		.amdhsa_next_free_vgpr 7
		.amdhsa_next_free_sgpr 10
		.amdhsa_reserve_vcc 1
		.amdhsa_reserve_flat_scratch 0
		.amdhsa_float_round_mode_32 0
		.amdhsa_float_round_mode_16_64 0
		.amdhsa_float_denorm_mode_32 3
		.amdhsa_float_denorm_mode_16_64 3
		.amdhsa_dx10_clamp 1
		.amdhsa_ieee_mode 1
		.amdhsa_fp16_overflow 0
		.amdhsa_exception_fp_ieee_invalid_op 0
		.amdhsa_exception_fp_denorm_src 0
		.amdhsa_exception_fp_ieee_div_zero 0
		.amdhsa_exception_fp_ieee_overflow 0
		.amdhsa_exception_fp_ieee_underflow 0
		.amdhsa_exception_fp_ieee_inexact 0
		.amdhsa_exception_int_div_zero 0
	.end_amdhsa_kernel
	.section	.text._ZL40rocblas_copy_triangular_syrk_herk_kernelILb0ELb0ELb0EdPKPdLi16ELi16EEviT3_ilPT2_i,"axG",@progbits,_ZL40rocblas_copy_triangular_syrk_herk_kernelILb0ELb0ELb0EdPKPdLi16ELi16EEviT3_ilPT2_i,comdat
.Lfunc_end23:
	.size	_ZL40rocblas_copy_triangular_syrk_herk_kernelILb0ELb0ELb0EdPKPdLi16ELi16EEviT3_ilPT2_i, .Lfunc_end23-_ZL40rocblas_copy_triangular_syrk_herk_kernelILb0ELb0ELb0EdPKPdLi16ELi16EEviT3_ilPT2_i
                                        ; -- End function
	.set _ZL40rocblas_copy_triangular_syrk_herk_kernelILb0ELb0ELb0EdPKPdLi16ELi16EEviT3_ilPT2_i.num_vgpr, 7
	.set _ZL40rocblas_copy_triangular_syrk_herk_kernelILb0ELb0ELb0EdPKPdLi16ELi16EEviT3_ilPT2_i.num_agpr, 0
	.set _ZL40rocblas_copy_triangular_syrk_herk_kernelILb0ELb0ELb0EdPKPdLi16ELi16EEviT3_ilPT2_i.numbered_sgpr, 10
	.set _ZL40rocblas_copy_triangular_syrk_herk_kernelILb0ELb0ELb0EdPKPdLi16ELi16EEviT3_ilPT2_i.num_named_barrier, 0
	.set _ZL40rocblas_copy_triangular_syrk_herk_kernelILb0ELb0ELb0EdPKPdLi16ELi16EEviT3_ilPT2_i.private_seg_size, 0
	.set _ZL40rocblas_copy_triangular_syrk_herk_kernelILb0ELb0ELb0EdPKPdLi16ELi16EEviT3_ilPT2_i.uses_vcc, 1
	.set _ZL40rocblas_copy_triangular_syrk_herk_kernelILb0ELb0ELb0EdPKPdLi16ELi16EEviT3_ilPT2_i.uses_flat_scratch, 0
	.set _ZL40rocblas_copy_triangular_syrk_herk_kernelILb0ELb0ELb0EdPKPdLi16ELi16EEviT3_ilPT2_i.has_dyn_sized_stack, 0
	.set _ZL40rocblas_copy_triangular_syrk_herk_kernelILb0ELb0ELb0EdPKPdLi16ELi16EEviT3_ilPT2_i.has_recursion, 0
	.set _ZL40rocblas_copy_triangular_syrk_herk_kernelILb0ELb0ELb0EdPKPdLi16ELi16EEviT3_ilPT2_i.has_indirect_call, 0
	.section	.AMDGPU.csdata,"",@progbits
; Kernel info:
; codeLenInByte = 328
; TotalNumSgprs: 14
; NumVgprs: 7
; ScratchSize: 0
; MemoryBound: 0
; FloatMode: 240
; IeeeMode: 1
; LDSByteSize: 0 bytes/workgroup (compile time only)
; SGPRBlocks: 1
; VGPRBlocks: 1
; NumSGPRsForWavesPerEU: 14
; NumVGPRsForWavesPerEU: 7
; Occupancy: 10
; WaveLimiterHint : 1
; COMPUTE_PGM_RSRC2:SCRATCH_EN: 0
; COMPUTE_PGM_RSRC2:USER_SGPR: 6
; COMPUTE_PGM_RSRC2:TRAP_HANDLER: 0
; COMPUTE_PGM_RSRC2:TGID_X_EN: 1
; COMPUTE_PGM_RSRC2:TGID_Y_EN: 1
; COMPUTE_PGM_RSRC2:TGID_Z_EN: 1
; COMPUTE_PGM_RSRC2:TIDIG_COMP_CNT: 1
	.section	.text._ZL40rocblas_copy_triangular_syrk_herk_kernelILb1ELb1ELb0E19rocblas_complex_numIfEPKPS1_Li16ELi16EEviT3_ilPT2_i,"axG",@progbits,_ZL40rocblas_copy_triangular_syrk_herk_kernelILb1ELb1ELb0E19rocblas_complex_numIfEPKPS1_Li16ELi16EEviT3_ilPT2_i,comdat
	.globl	_ZL40rocblas_copy_triangular_syrk_herk_kernelILb1ELb1ELb0E19rocblas_complex_numIfEPKPS1_Li16ELi16EEviT3_ilPT2_i ; -- Begin function _ZL40rocblas_copy_triangular_syrk_herk_kernelILb1ELb1ELb0E19rocblas_complex_numIfEPKPS1_Li16ELi16EEviT3_ilPT2_i
	.p2align	8
	.type	_ZL40rocblas_copy_triangular_syrk_herk_kernelILb1ELb1ELb0E19rocblas_complex_numIfEPKPS1_Li16ELi16EEviT3_ilPT2_i,@function
_ZL40rocblas_copy_triangular_syrk_herk_kernelILb1ELb1ELb0E19rocblas_complex_numIfEPKPS1_Li16ELi16EEviT3_ilPT2_i: ; @_ZL40rocblas_copy_triangular_syrk_herk_kernelILb1ELb1ELb0E19rocblas_complex_numIfEPKPS1_Li16ELi16EEviT3_ilPT2_i
; %bb.0:
	s_load_dword s0, s[4:5], 0x3c
	s_load_dword s2, s[4:5], 0x0
	s_waitcnt lgkmcnt(0)
	s_lshr_b32 s1, s0, 16
	s_and_b32 s0, s0, 0xffff
	s_mul_i32 s7, s7, s1
	s_mul_i32 s6, s6, s0
	v_add_u32_e32 v1, s7, v1
	v_add_u32_e32 v0, s6, v0
	v_max_i32_e32 v2, v1, v0
	v_cmp_gt_i32_e32 vcc, s2, v2
	v_cmp_gt_i32_e64 s[0:1], v1, v0
	s_and_b64 s[0:1], s[0:1], vcc
	s_and_saveexec_b64 s[6:7], s[0:1]
	s_cbranch_execz .LBB24_2
; %bb.1:
	s_add_i32 s3, s2, -1
	s_load_dwordx2 s[0:1], s[4:5], 0x8
	s_load_dword s10, s[4:5], 0x10
	s_load_dwordx2 s[6:7], s[4:5], 0x20
	s_mul_hi_i32 s4, s3, s2
	s_mul_i32 s3, s3, s2
	s_lshr_b32 s2, s4, 31
	s_add_u32 s2, s3, s2
	s_addc_u32 s3, s4, 0
	s_ashr_i64 s[2:3], s[2:3], 1
	s_mul_i32 s3, s3, s8
	s_mul_hi_u32 s4, s2, s8
	s_add_i32 s3, s4, s3
	s_mul_i32 s2, s2, s8
	s_lshl_b64 s[2:3], s[2:3], 3
	s_mov_b32 s9, 0
	s_waitcnt lgkmcnt(0)
	s_add_u32 s4, s6, s2
	s_addc_u32 s5, s7, s3
	s_lshl_b64 s[2:3], s[8:9], 3
	s_add_u32 s0, s0, s2
	s_addc_u32 s1, s1, s3
	v_mad_i64_i32 v[3:4], s[2:3], v0, s10, 0
	s_load_dwordx2 s[0:1], s[0:1], 0x0
	v_ashrrev_i32_e32 v2, 31, v1
	v_lshlrev_b64 v[3:4], 3, v[3:4]
	s_waitcnt lgkmcnt(0)
	v_mov_b32_e32 v5, s1
	v_add_co_u32_e32 v6, vcc, s0, v3
	v_lshlrev_b64 v[2:3], 3, v[1:2]
	v_addc_co_u32_e32 v4, vcc, v5, v4, vcc
	v_add_co_u32_e32 v2, vcc, v6, v2
	v_addc_co_u32_e32 v3, vcc, v4, v3, vcc
	flat_load_dwordx2 v[2:3], v[2:3]
	v_add_u32_e32 v4, -1, v1
	v_mul_lo_u32 v1, v4, v1
	v_lshrrev_b32_e32 v4, 31, v1
	v_add_u32_e32 v1, v1, v4
	v_ashrrev_i32_e32 v1, 1, v1
	v_add_u32_e32 v0, v1, v0
	v_ashrrev_i32_e32 v1, 31, v0
	v_lshlrev_b64 v[0:1], 3, v[0:1]
	v_mov_b32_e32 v4, s5
	v_add_co_u32_e32 v0, vcc, s4, v0
	v_addc_co_u32_e32 v1, vcc, v4, v1, vcc
	s_waitcnt vmcnt(0) lgkmcnt(0)
	global_store_dwordx2 v[0:1], v[2:3], off
.LBB24_2:
	s_endpgm
	.section	.rodata,"a",@progbits
	.p2align	6, 0x0
	.amdhsa_kernel _ZL40rocblas_copy_triangular_syrk_herk_kernelILb1ELb1ELb0E19rocblas_complex_numIfEPKPS1_Li16ELi16EEviT3_ilPT2_i
		.amdhsa_group_segment_fixed_size 0
		.amdhsa_private_segment_fixed_size 0
		.amdhsa_kernarg_size 304
		.amdhsa_user_sgpr_count 6
		.amdhsa_user_sgpr_private_segment_buffer 1
		.amdhsa_user_sgpr_dispatch_ptr 0
		.amdhsa_user_sgpr_queue_ptr 0
		.amdhsa_user_sgpr_kernarg_segment_ptr 1
		.amdhsa_user_sgpr_dispatch_id 0
		.amdhsa_user_sgpr_flat_scratch_init 0
		.amdhsa_user_sgpr_private_segment_size 0
		.amdhsa_uses_dynamic_stack 0
		.amdhsa_system_sgpr_private_segment_wavefront_offset 0
		.amdhsa_system_sgpr_workgroup_id_x 1
		.amdhsa_system_sgpr_workgroup_id_y 1
		.amdhsa_system_sgpr_workgroup_id_z 1
		.amdhsa_system_sgpr_workgroup_info 0
		.amdhsa_system_vgpr_workitem_id 1
		.amdhsa_next_free_vgpr 7
		.amdhsa_next_free_sgpr 11
		.amdhsa_reserve_vcc 1
		.amdhsa_reserve_flat_scratch 0
		.amdhsa_float_round_mode_32 0
		.amdhsa_float_round_mode_16_64 0
		.amdhsa_float_denorm_mode_32 3
		.amdhsa_float_denorm_mode_16_64 3
		.amdhsa_dx10_clamp 1
		.amdhsa_ieee_mode 1
		.amdhsa_fp16_overflow 0
		.amdhsa_exception_fp_ieee_invalid_op 0
		.amdhsa_exception_fp_denorm_src 0
		.amdhsa_exception_fp_ieee_div_zero 0
		.amdhsa_exception_fp_ieee_overflow 0
		.amdhsa_exception_fp_ieee_underflow 0
		.amdhsa_exception_fp_ieee_inexact 0
		.amdhsa_exception_int_div_zero 0
	.end_amdhsa_kernel
	.section	.text._ZL40rocblas_copy_triangular_syrk_herk_kernelILb1ELb1ELb0E19rocblas_complex_numIfEPKPS1_Li16ELi16EEviT3_ilPT2_i,"axG",@progbits,_ZL40rocblas_copy_triangular_syrk_herk_kernelILb1ELb1ELb0E19rocblas_complex_numIfEPKPS1_Li16ELi16EEviT3_ilPT2_i,comdat
.Lfunc_end24:
	.size	_ZL40rocblas_copy_triangular_syrk_herk_kernelILb1ELb1ELb0E19rocblas_complex_numIfEPKPS1_Li16ELi16EEviT3_ilPT2_i, .Lfunc_end24-_ZL40rocblas_copy_triangular_syrk_herk_kernelILb1ELb1ELb0E19rocblas_complex_numIfEPKPS1_Li16ELi16EEviT3_ilPT2_i
                                        ; -- End function
	.set _ZL40rocblas_copy_triangular_syrk_herk_kernelILb1ELb1ELb0E19rocblas_complex_numIfEPKPS1_Li16ELi16EEviT3_ilPT2_i.num_vgpr, 7
	.set _ZL40rocblas_copy_triangular_syrk_herk_kernelILb1ELb1ELb0E19rocblas_complex_numIfEPKPS1_Li16ELi16EEviT3_ilPT2_i.num_agpr, 0
	.set _ZL40rocblas_copy_triangular_syrk_herk_kernelILb1ELb1ELb0E19rocblas_complex_numIfEPKPS1_Li16ELi16EEviT3_ilPT2_i.numbered_sgpr, 11
	.set _ZL40rocblas_copy_triangular_syrk_herk_kernelILb1ELb1ELb0E19rocblas_complex_numIfEPKPS1_Li16ELi16EEviT3_ilPT2_i.num_named_barrier, 0
	.set _ZL40rocblas_copy_triangular_syrk_herk_kernelILb1ELb1ELb0E19rocblas_complex_numIfEPKPS1_Li16ELi16EEviT3_ilPT2_i.private_seg_size, 0
	.set _ZL40rocblas_copy_triangular_syrk_herk_kernelILb1ELb1ELb0E19rocblas_complex_numIfEPKPS1_Li16ELi16EEviT3_ilPT2_i.uses_vcc, 1
	.set _ZL40rocblas_copy_triangular_syrk_herk_kernelILb1ELb1ELb0E19rocblas_complex_numIfEPKPS1_Li16ELi16EEviT3_ilPT2_i.uses_flat_scratch, 0
	.set _ZL40rocblas_copy_triangular_syrk_herk_kernelILb1ELb1ELb0E19rocblas_complex_numIfEPKPS1_Li16ELi16EEviT3_ilPT2_i.has_dyn_sized_stack, 0
	.set _ZL40rocblas_copy_triangular_syrk_herk_kernelILb1ELb1ELb0E19rocblas_complex_numIfEPKPS1_Li16ELi16EEviT3_ilPT2_i.has_recursion, 0
	.set _ZL40rocblas_copy_triangular_syrk_herk_kernelILb1ELb1ELb0E19rocblas_complex_numIfEPKPS1_Li16ELi16EEviT3_ilPT2_i.has_indirect_call, 0
	.section	.AMDGPU.csdata,"",@progbits
; Kernel info:
; codeLenInByte = 312
; TotalNumSgprs: 15
; NumVgprs: 7
; ScratchSize: 0
; MemoryBound: 0
; FloatMode: 240
; IeeeMode: 1
; LDSByteSize: 0 bytes/workgroup (compile time only)
; SGPRBlocks: 1
; VGPRBlocks: 1
; NumSGPRsForWavesPerEU: 15
; NumVGPRsForWavesPerEU: 7
; Occupancy: 10
; WaveLimiterHint : 1
; COMPUTE_PGM_RSRC2:SCRATCH_EN: 0
; COMPUTE_PGM_RSRC2:USER_SGPR: 6
; COMPUTE_PGM_RSRC2:TRAP_HANDLER: 0
; COMPUTE_PGM_RSRC2:TGID_X_EN: 1
; COMPUTE_PGM_RSRC2:TGID_Y_EN: 1
; COMPUTE_PGM_RSRC2:TGID_Z_EN: 1
; COMPUTE_PGM_RSRC2:TIDIG_COMP_CNT: 1
	.section	.text._ZL40rocblas_copy_triangular_syrk_herk_kernelILb1ELb0ELb0E19rocblas_complex_numIfEPKPS1_Li16ELi16EEviT3_ilPT2_i,"axG",@progbits,_ZL40rocblas_copy_triangular_syrk_herk_kernelILb1ELb0ELb0E19rocblas_complex_numIfEPKPS1_Li16ELi16EEviT3_ilPT2_i,comdat
	.globl	_ZL40rocblas_copy_triangular_syrk_herk_kernelILb1ELb0ELb0E19rocblas_complex_numIfEPKPS1_Li16ELi16EEviT3_ilPT2_i ; -- Begin function _ZL40rocblas_copy_triangular_syrk_herk_kernelILb1ELb0ELb0E19rocblas_complex_numIfEPKPS1_Li16ELi16EEviT3_ilPT2_i
	.p2align	8
	.type	_ZL40rocblas_copy_triangular_syrk_herk_kernelILb1ELb0ELb0E19rocblas_complex_numIfEPKPS1_Li16ELi16EEviT3_ilPT2_i,@function
_ZL40rocblas_copy_triangular_syrk_herk_kernelILb1ELb0ELb0E19rocblas_complex_numIfEPKPS1_Li16ELi16EEviT3_ilPT2_i: ; @_ZL40rocblas_copy_triangular_syrk_herk_kernelILb1ELb0ELb0E19rocblas_complex_numIfEPKPS1_Li16ELi16EEviT3_ilPT2_i
; %bb.0:
	s_load_dword s0, s[4:5], 0x3c
	s_load_dword s2, s[4:5], 0x0
	s_waitcnt lgkmcnt(0)
	s_lshr_b32 s1, s0, 16
	s_and_b32 s0, s0, 0xffff
	s_mul_i32 s7, s7, s1
	s_mul_i32 s6, s6, s0
	v_add_u32_e32 v1, s7, v1
	v_add_u32_e32 v0, s6, v0
	v_max_i32_e32 v2, v1, v0
	v_cmp_gt_i32_e32 vcc, s2, v2
	v_cmp_lt_i32_e64 s[0:1], v1, v0
	s_and_b64 s[0:1], s[0:1], vcc
	s_and_saveexec_b64 s[6:7], s[0:1]
	s_cbranch_execz .LBB25_2
; %bb.1:
	s_load_dwordx2 s[0:1], s[4:5], 0x8
	s_load_dword s3, s[4:5], 0x10
	s_load_dwordx2 s[6:7], s[4:5], 0x20
	s_add_i32 s4, s2, -1
	s_mul_hi_i32 s5, s4, s2
	s_mul_i32 s4, s4, s2
	s_lshr_b32 s10, s5, 31
	s_add_u32 s4, s4, s10
	s_addc_u32 s5, s5, 0
	s_ashr_i64 s[4:5], s[4:5], 1
	s_mul_i32 s5, s5, s8
	s_mul_hi_u32 s10, s4, s8
	s_add_i32 s5, s10, s5
	s_mul_i32 s4, s4, s8
	s_lshl_b64 s[4:5], s[4:5], 3
	s_mov_b32 s9, 0
	s_waitcnt lgkmcnt(0)
	s_add_u32 s6, s6, s4
	s_addc_u32 s7, s7, s5
	s_lshl_b64 s[4:5], s[8:9], 3
	s_add_u32 s0, s0, s4
	s_addc_u32 s1, s1, s5
	v_mad_i64_i32 v[3:4], s[4:5], v0, s3, 0
	s_load_dwordx2 s[0:1], s[0:1], 0x0
	v_ashrrev_i32_e32 v2, 31, v1
	v_lshlrev_b64 v[3:4], 3, v[3:4]
	s_waitcnt lgkmcnt(0)
	v_mov_b32_e32 v5, s1
	v_add_co_u32_e32 v6, vcc, s0, v3
	v_lshlrev_b64 v[2:3], 3, v[1:2]
	v_addc_co_u32_e32 v4, vcc, v5, v4, vcc
	v_add_co_u32_e32 v2, vcc, v6, v2
	v_addc_co_u32_e32 v3, vcc, v4, v3, vcc
	flat_load_dwordx2 v[2:3], v[2:3]
	v_not_b32_e32 v4, v1
	v_lshl_add_u32 v5, s2, 1, v4
	v_mul_lo_u32 v1, v5, v1
	v_lshrrev_b32_e32 v5, 31, v1
	v_add_u32_e32 v1, v1, v5
	v_ashrrev_i32_e32 v1, 1, v1
	v_add3_u32 v0, v0, v4, v1
	v_ashrrev_i32_e32 v1, 31, v0
	v_lshlrev_b64 v[0:1], 3, v[0:1]
	v_mov_b32_e32 v4, s7
	v_add_co_u32_e32 v0, vcc, s6, v0
	v_addc_co_u32_e32 v1, vcc, v4, v1, vcc
	s_waitcnt vmcnt(0) lgkmcnt(0)
	global_store_dwordx2 v[0:1], v[2:3], off
.LBB25_2:
	s_endpgm
	.section	.rodata,"a",@progbits
	.p2align	6, 0x0
	.amdhsa_kernel _ZL40rocblas_copy_triangular_syrk_herk_kernelILb1ELb0ELb0E19rocblas_complex_numIfEPKPS1_Li16ELi16EEviT3_ilPT2_i
		.amdhsa_group_segment_fixed_size 0
		.amdhsa_private_segment_fixed_size 0
		.amdhsa_kernarg_size 304
		.amdhsa_user_sgpr_count 6
		.amdhsa_user_sgpr_private_segment_buffer 1
		.amdhsa_user_sgpr_dispatch_ptr 0
		.amdhsa_user_sgpr_queue_ptr 0
		.amdhsa_user_sgpr_kernarg_segment_ptr 1
		.amdhsa_user_sgpr_dispatch_id 0
		.amdhsa_user_sgpr_flat_scratch_init 0
		.amdhsa_user_sgpr_private_segment_size 0
		.amdhsa_uses_dynamic_stack 0
		.amdhsa_system_sgpr_private_segment_wavefront_offset 0
		.amdhsa_system_sgpr_workgroup_id_x 1
		.amdhsa_system_sgpr_workgroup_id_y 1
		.amdhsa_system_sgpr_workgroup_id_z 1
		.amdhsa_system_sgpr_workgroup_info 0
		.amdhsa_system_vgpr_workitem_id 1
		.amdhsa_next_free_vgpr 7
		.amdhsa_next_free_sgpr 11
		.amdhsa_reserve_vcc 1
		.amdhsa_reserve_flat_scratch 0
		.amdhsa_float_round_mode_32 0
		.amdhsa_float_round_mode_16_64 0
		.amdhsa_float_denorm_mode_32 3
		.amdhsa_float_denorm_mode_16_64 3
		.amdhsa_dx10_clamp 1
		.amdhsa_ieee_mode 1
		.amdhsa_fp16_overflow 0
		.amdhsa_exception_fp_ieee_invalid_op 0
		.amdhsa_exception_fp_denorm_src 0
		.amdhsa_exception_fp_ieee_div_zero 0
		.amdhsa_exception_fp_ieee_overflow 0
		.amdhsa_exception_fp_ieee_underflow 0
		.amdhsa_exception_fp_ieee_inexact 0
		.amdhsa_exception_int_div_zero 0
	.end_amdhsa_kernel
	.section	.text._ZL40rocblas_copy_triangular_syrk_herk_kernelILb1ELb0ELb0E19rocblas_complex_numIfEPKPS1_Li16ELi16EEviT3_ilPT2_i,"axG",@progbits,_ZL40rocblas_copy_triangular_syrk_herk_kernelILb1ELb0ELb0E19rocblas_complex_numIfEPKPS1_Li16ELi16EEviT3_ilPT2_i,comdat
.Lfunc_end25:
	.size	_ZL40rocblas_copy_triangular_syrk_herk_kernelILb1ELb0ELb0E19rocblas_complex_numIfEPKPS1_Li16ELi16EEviT3_ilPT2_i, .Lfunc_end25-_ZL40rocblas_copy_triangular_syrk_herk_kernelILb1ELb0ELb0E19rocblas_complex_numIfEPKPS1_Li16ELi16EEviT3_ilPT2_i
                                        ; -- End function
	.set _ZL40rocblas_copy_triangular_syrk_herk_kernelILb1ELb0ELb0E19rocblas_complex_numIfEPKPS1_Li16ELi16EEviT3_ilPT2_i.num_vgpr, 7
	.set _ZL40rocblas_copy_triangular_syrk_herk_kernelILb1ELb0ELb0E19rocblas_complex_numIfEPKPS1_Li16ELi16EEviT3_ilPT2_i.num_agpr, 0
	.set _ZL40rocblas_copy_triangular_syrk_herk_kernelILb1ELb0ELb0E19rocblas_complex_numIfEPKPS1_Li16ELi16EEviT3_ilPT2_i.numbered_sgpr, 11
	.set _ZL40rocblas_copy_triangular_syrk_herk_kernelILb1ELb0ELb0E19rocblas_complex_numIfEPKPS1_Li16ELi16EEviT3_ilPT2_i.num_named_barrier, 0
	.set _ZL40rocblas_copy_triangular_syrk_herk_kernelILb1ELb0ELb0E19rocblas_complex_numIfEPKPS1_Li16ELi16EEviT3_ilPT2_i.private_seg_size, 0
	.set _ZL40rocblas_copy_triangular_syrk_herk_kernelILb1ELb0ELb0E19rocblas_complex_numIfEPKPS1_Li16ELi16EEviT3_ilPT2_i.uses_vcc, 1
	.set _ZL40rocblas_copy_triangular_syrk_herk_kernelILb1ELb0ELb0E19rocblas_complex_numIfEPKPS1_Li16ELi16EEviT3_ilPT2_i.uses_flat_scratch, 0
	.set _ZL40rocblas_copy_triangular_syrk_herk_kernelILb1ELb0ELb0E19rocblas_complex_numIfEPKPS1_Li16ELi16EEviT3_ilPT2_i.has_dyn_sized_stack, 0
	.set _ZL40rocblas_copy_triangular_syrk_herk_kernelILb1ELb0ELb0E19rocblas_complex_numIfEPKPS1_Li16ELi16EEviT3_ilPT2_i.has_recursion, 0
	.set _ZL40rocblas_copy_triangular_syrk_herk_kernelILb1ELb0ELb0E19rocblas_complex_numIfEPKPS1_Li16ELi16EEviT3_ilPT2_i.has_indirect_call, 0
	.section	.AMDGPU.csdata,"",@progbits
; Kernel info:
; codeLenInByte = 324
; TotalNumSgprs: 15
; NumVgprs: 7
; ScratchSize: 0
; MemoryBound: 0
; FloatMode: 240
; IeeeMode: 1
; LDSByteSize: 0 bytes/workgroup (compile time only)
; SGPRBlocks: 1
; VGPRBlocks: 1
; NumSGPRsForWavesPerEU: 15
; NumVGPRsForWavesPerEU: 7
; Occupancy: 10
; WaveLimiterHint : 1
; COMPUTE_PGM_RSRC2:SCRATCH_EN: 0
; COMPUTE_PGM_RSRC2:USER_SGPR: 6
; COMPUTE_PGM_RSRC2:TRAP_HANDLER: 0
; COMPUTE_PGM_RSRC2:TGID_X_EN: 1
; COMPUTE_PGM_RSRC2:TGID_Y_EN: 1
; COMPUTE_PGM_RSRC2:TGID_Z_EN: 1
; COMPUTE_PGM_RSRC2:TIDIG_COMP_CNT: 1
	.section	.text._ZL40rocblas_copy_triangular_syrk_herk_kernelILb0ELb1ELb0E19rocblas_complex_numIfEPKPS1_Li16ELi16EEviT3_ilPT2_i,"axG",@progbits,_ZL40rocblas_copy_triangular_syrk_herk_kernelILb0ELb1ELb0E19rocblas_complex_numIfEPKPS1_Li16ELi16EEviT3_ilPT2_i,comdat
	.globl	_ZL40rocblas_copy_triangular_syrk_herk_kernelILb0ELb1ELb0E19rocblas_complex_numIfEPKPS1_Li16ELi16EEviT3_ilPT2_i ; -- Begin function _ZL40rocblas_copy_triangular_syrk_herk_kernelILb0ELb1ELb0E19rocblas_complex_numIfEPKPS1_Li16ELi16EEviT3_ilPT2_i
	.p2align	8
	.type	_ZL40rocblas_copy_triangular_syrk_herk_kernelILb0ELb1ELb0E19rocblas_complex_numIfEPKPS1_Li16ELi16EEviT3_ilPT2_i,@function
_ZL40rocblas_copy_triangular_syrk_herk_kernelILb0ELb1ELb0E19rocblas_complex_numIfEPKPS1_Li16ELi16EEviT3_ilPT2_i: ; @_ZL40rocblas_copy_triangular_syrk_herk_kernelILb0ELb1ELb0E19rocblas_complex_numIfEPKPS1_Li16ELi16EEviT3_ilPT2_i
; %bb.0:
	s_load_dword s0, s[4:5], 0x3c
	s_load_dword s2, s[4:5], 0x0
	s_waitcnt lgkmcnt(0)
	s_lshr_b32 s1, s0, 16
	s_and_b32 s0, s0, 0xffff
	s_mul_i32 s7, s7, s1
	s_mul_i32 s6, s6, s0
	v_add_u32_e32 v1, s7, v1
	v_add_u32_e32 v0, s6, v0
	v_max_i32_e32 v2, v1, v0
	v_cmp_gt_i32_e32 vcc, s2, v2
	v_cmp_gt_i32_e64 s[0:1], v1, v0
	s_and_b64 s[0:1], s[0:1], vcc
	s_and_saveexec_b64 s[6:7], s[0:1]
	s_cbranch_execz .LBB26_2
; %bb.1:
	v_add_u32_e32 v2, -1, v1
	s_add_i32 s3, s2, -1
	v_mul_lo_u32 v2, v2, v1
	s_mul_hi_i32 s6, s3, s2
	s_mul_i32 s3, s3, s2
	s_lshr_b32 s2, s6, 31
	s_add_u32 s2, s3, s2
	s_load_dwordx2 s[0:1], s[4:5], 0x20
	s_addc_u32 s3, s6, 0
	v_lshrrev_b32_e32 v3, 31, v2
	s_ashr_i64 s[2:3], s[2:3], 1
	v_add_u32_e32 v2, v2, v3
	s_mul_i32 s3, s3, s8
	s_mul_hi_u32 s6, s2, s8
	v_ashrrev_i32_e32 v2, 1, v2
	s_add_i32 s3, s6, s3
	s_mul_i32 s2, s2, s8
	v_add_u32_e32 v2, v2, v0
	s_lshl_b64 s[2:3], s[2:3], 3
	v_ashrrev_i32_e32 v3, 31, v2
	s_waitcnt lgkmcnt(0)
	s_add_u32 s0, s0, s2
	v_lshlrev_b64 v[2:3], 3, v[2:3]
	s_addc_u32 s1, s1, s3
	v_mov_b32_e32 v4, s1
	v_add_co_u32_e32 v2, vcc, s0, v2
	v_addc_co_u32_e32 v3, vcc, v4, v3, vcc
	global_load_dwordx2 v[3:4], v[2:3], off
	s_load_dwordx2 s[0:1], s[4:5], 0x8
	s_load_dword s6, s[4:5], 0x10
	s_mov_b32 s9, 0
	s_lshl_b64 s[2:3], s[8:9], 3
	v_ashrrev_i32_e32 v2, 31, v1
	s_waitcnt lgkmcnt(0)
	s_add_u32 s0, s0, s2
	s_addc_u32 s1, s1, s3
	v_mad_i64_i32 v[5:6], s[2:3], v0, s6, 0
	s_load_dwordx2 s[0:1], s[0:1], 0x0
	v_lshlrev_b64 v[5:6], 3, v[5:6]
	s_waitcnt lgkmcnt(0)
	v_mov_b32_e32 v0, s1
	v_add_co_u32_e32 v5, vcc, s0, v5
	v_addc_co_u32_e32 v6, vcc, v0, v6, vcc
	v_lshlrev_b64 v[0:1], 3, v[1:2]
	v_add_co_u32_e32 v0, vcc, v5, v0
	v_addc_co_u32_e32 v1, vcc, v6, v1, vcc
	s_waitcnt vmcnt(0)
	flat_store_dwordx2 v[0:1], v[3:4]
.LBB26_2:
	s_endpgm
	.section	.rodata,"a",@progbits
	.p2align	6, 0x0
	.amdhsa_kernel _ZL40rocblas_copy_triangular_syrk_herk_kernelILb0ELb1ELb0E19rocblas_complex_numIfEPKPS1_Li16ELi16EEviT3_ilPT2_i
		.amdhsa_group_segment_fixed_size 0
		.amdhsa_private_segment_fixed_size 0
		.amdhsa_kernarg_size 304
		.amdhsa_user_sgpr_count 6
		.amdhsa_user_sgpr_private_segment_buffer 1
		.amdhsa_user_sgpr_dispatch_ptr 0
		.amdhsa_user_sgpr_queue_ptr 0
		.amdhsa_user_sgpr_kernarg_segment_ptr 1
		.amdhsa_user_sgpr_dispatch_id 0
		.amdhsa_user_sgpr_flat_scratch_init 0
		.amdhsa_user_sgpr_private_segment_size 0
		.amdhsa_uses_dynamic_stack 0
		.amdhsa_system_sgpr_private_segment_wavefront_offset 0
		.amdhsa_system_sgpr_workgroup_id_x 1
		.amdhsa_system_sgpr_workgroup_id_y 1
		.amdhsa_system_sgpr_workgroup_id_z 1
		.amdhsa_system_sgpr_workgroup_info 0
		.amdhsa_system_vgpr_workitem_id 1
		.amdhsa_next_free_vgpr 7
		.amdhsa_next_free_sgpr 10
		.amdhsa_reserve_vcc 1
		.amdhsa_reserve_flat_scratch 0
		.amdhsa_float_round_mode_32 0
		.amdhsa_float_round_mode_16_64 0
		.amdhsa_float_denorm_mode_32 3
		.amdhsa_float_denorm_mode_16_64 3
		.amdhsa_dx10_clamp 1
		.amdhsa_ieee_mode 1
		.amdhsa_fp16_overflow 0
		.amdhsa_exception_fp_ieee_invalid_op 0
		.amdhsa_exception_fp_denorm_src 0
		.amdhsa_exception_fp_ieee_div_zero 0
		.amdhsa_exception_fp_ieee_overflow 0
		.amdhsa_exception_fp_ieee_underflow 0
		.amdhsa_exception_fp_ieee_inexact 0
		.amdhsa_exception_int_div_zero 0
	.end_amdhsa_kernel
	.section	.text._ZL40rocblas_copy_triangular_syrk_herk_kernelILb0ELb1ELb0E19rocblas_complex_numIfEPKPS1_Li16ELi16EEviT3_ilPT2_i,"axG",@progbits,_ZL40rocblas_copy_triangular_syrk_herk_kernelILb0ELb1ELb0E19rocblas_complex_numIfEPKPS1_Li16ELi16EEviT3_ilPT2_i,comdat
.Lfunc_end26:
	.size	_ZL40rocblas_copy_triangular_syrk_herk_kernelILb0ELb1ELb0E19rocblas_complex_numIfEPKPS1_Li16ELi16EEviT3_ilPT2_i, .Lfunc_end26-_ZL40rocblas_copy_triangular_syrk_herk_kernelILb0ELb1ELb0E19rocblas_complex_numIfEPKPS1_Li16ELi16EEviT3_ilPT2_i
                                        ; -- End function
	.set _ZL40rocblas_copy_triangular_syrk_herk_kernelILb0ELb1ELb0E19rocblas_complex_numIfEPKPS1_Li16ELi16EEviT3_ilPT2_i.num_vgpr, 7
	.set _ZL40rocblas_copy_triangular_syrk_herk_kernelILb0ELb1ELb0E19rocblas_complex_numIfEPKPS1_Li16ELi16EEviT3_ilPT2_i.num_agpr, 0
	.set _ZL40rocblas_copy_triangular_syrk_herk_kernelILb0ELb1ELb0E19rocblas_complex_numIfEPKPS1_Li16ELi16EEviT3_ilPT2_i.numbered_sgpr, 10
	.set _ZL40rocblas_copy_triangular_syrk_herk_kernelILb0ELb1ELb0E19rocblas_complex_numIfEPKPS1_Li16ELi16EEviT3_ilPT2_i.num_named_barrier, 0
	.set _ZL40rocblas_copy_triangular_syrk_herk_kernelILb0ELb1ELb0E19rocblas_complex_numIfEPKPS1_Li16ELi16EEviT3_ilPT2_i.private_seg_size, 0
	.set _ZL40rocblas_copy_triangular_syrk_herk_kernelILb0ELb1ELb0E19rocblas_complex_numIfEPKPS1_Li16ELi16EEviT3_ilPT2_i.uses_vcc, 1
	.set _ZL40rocblas_copy_triangular_syrk_herk_kernelILb0ELb1ELb0E19rocblas_complex_numIfEPKPS1_Li16ELi16EEviT3_ilPT2_i.uses_flat_scratch, 0
	.set _ZL40rocblas_copy_triangular_syrk_herk_kernelILb0ELb1ELb0E19rocblas_complex_numIfEPKPS1_Li16ELi16EEviT3_ilPT2_i.has_dyn_sized_stack, 0
	.set _ZL40rocblas_copy_triangular_syrk_herk_kernelILb0ELb1ELb0E19rocblas_complex_numIfEPKPS1_Li16ELi16EEviT3_ilPT2_i.has_recursion, 0
	.set _ZL40rocblas_copy_triangular_syrk_herk_kernelILb0ELb1ELb0E19rocblas_complex_numIfEPKPS1_Li16ELi16EEviT3_ilPT2_i.has_indirect_call, 0
	.section	.AMDGPU.csdata,"",@progbits
; Kernel info:
; codeLenInByte = 316
; TotalNumSgprs: 14
; NumVgprs: 7
; ScratchSize: 0
; MemoryBound: 0
; FloatMode: 240
; IeeeMode: 1
; LDSByteSize: 0 bytes/workgroup (compile time only)
; SGPRBlocks: 1
; VGPRBlocks: 1
; NumSGPRsForWavesPerEU: 14
; NumVGPRsForWavesPerEU: 7
; Occupancy: 10
; WaveLimiterHint : 1
; COMPUTE_PGM_RSRC2:SCRATCH_EN: 0
; COMPUTE_PGM_RSRC2:USER_SGPR: 6
; COMPUTE_PGM_RSRC2:TRAP_HANDLER: 0
; COMPUTE_PGM_RSRC2:TGID_X_EN: 1
; COMPUTE_PGM_RSRC2:TGID_Y_EN: 1
; COMPUTE_PGM_RSRC2:TGID_Z_EN: 1
; COMPUTE_PGM_RSRC2:TIDIG_COMP_CNT: 1
	.section	.text._ZL40rocblas_copy_triangular_syrk_herk_kernelILb0ELb0ELb0E19rocblas_complex_numIfEPKPS1_Li16ELi16EEviT3_ilPT2_i,"axG",@progbits,_ZL40rocblas_copy_triangular_syrk_herk_kernelILb0ELb0ELb0E19rocblas_complex_numIfEPKPS1_Li16ELi16EEviT3_ilPT2_i,comdat
	.globl	_ZL40rocblas_copy_triangular_syrk_herk_kernelILb0ELb0ELb0E19rocblas_complex_numIfEPKPS1_Li16ELi16EEviT3_ilPT2_i ; -- Begin function _ZL40rocblas_copy_triangular_syrk_herk_kernelILb0ELb0ELb0E19rocblas_complex_numIfEPKPS1_Li16ELi16EEviT3_ilPT2_i
	.p2align	8
	.type	_ZL40rocblas_copy_triangular_syrk_herk_kernelILb0ELb0ELb0E19rocblas_complex_numIfEPKPS1_Li16ELi16EEviT3_ilPT2_i,@function
_ZL40rocblas_copy_triangular_syrk_herk_kernelILb0ELb0ELb0E19rocblas_complex_numIfEPKPS1_Li16ELi16EEviT3_ilPT2_i: ; @_ZL40rocblas_copy_triangular_syrk_herk_kernelILb0ELb0ELb0E19rocblas_complex_numIfEPKPS1_Li16ELi16EEviT3_ilPT2_i
; %bb.0:
	s_load_dword s0, s[4:5], 0x3c
	s_load_dword s2, s[4:5], 0x0
	s_waitcnt lgkmcnt(0)
	s_lshr_b32 s1, s0, 16
	s_and_b32 s0, s0, 0xffff
	s_mul_i32 s7, s7, s1
	s_mul_i32 s6, s6, s0
	v_add_u32_e32 v1, s7, v1
	v_add_u32_e32 v0, s6, v0
	v_max_i32_e32 v2, v1, v0
	v_cmp_gt_i32_e32 vcc, s2, v2
	v_cmp_lt_i32_e64 s[0:1], v1, v0
	s_and_b64 s[0:1], s[0:1], vcc
	s_and_saveexec_b64 s[6:7], s[0:1]
	s_cbranch_execz .LBB27_2
; %bb.1:
	v_not_b32_e32 v2, v1
	v_lshl_add_u32 v3, s2, 1, v2
	s_add_i32 s3, s2, -1
	v_mul_lo_u32 v3, v3, v1
	s_mul_hi_i32 s7, s3, s2
	s_mul_i32 s3, s3, s2
	s_lshr_b32 s6, s7, 31
	s_add_u32 s6, s3, s6
	s_load_dwordx2 s[0:1], s[4:5], 0x20
	s_addc_u32 s7, s7, 0
	v_lshrrev_b32_e32 v4, 31, v3
	s_ashr_i64 s[6:7], s[6:7], 1
	v_add_u32_e32 v3, v3, v4
	s_mul_i32 s3, s7, s8
	s_mul_hi_u32 s7, s6, s8
	v_ashrrev_i32_e32 v3, 1, v3
	s_add_i32 s7, s7, s3
	s_mul_i32 s6, s6, s8
	v_add3_u32 v2, v0, v2, v3
	s_lshl_b64 s[2:3], s[6:7], 3
	v_ashrrev_i32_e32 v3, 31, v2
	s_waitcnt lgkmcnt(0)
	s_add_u32 s0, s0, s2
	v_lshlrev_b64 v[2:3], 3, v[2:3]
	s_addc_u32 s1, s1, s3
	v_mov_b32_e32 v4, s1
	v_add_co_u32_e32 v2, vcc, s0, v2
	v_addc_co_u32_e32 v3, vcc, v4, v3, vcc
	global_load_dwordx2 v[3:4], v[2:3], off
	s_load_dwordx2 s[0:1], s[4:5], 0x8
	s_load_dword s6, s[4:5], 0x10
	s_mov_b32 s9, 0
	s_lshl_b64 s[2:3], s[8:9], 3
	v_ashrrev_i32_e32 v2, 31, v1
	s_waitcnt lgkmcnt(0)
	s_add_u32 s0, s0, s2
	s_addc_u32 s1, s1, s3
	v_mad_i64_i32 v[5:6], s[2:3], v0, s6, 0
	s_load_dwordx2 s[0:1], s[0:1], 0x0
	v_lshlrev_b64 v[5:6], 3, v[5:6]
	s_waitcnt lgkmcnt(0)
	v_mov_b32_e32 v0, s1
	v_add_co_u32_e32 v5, vcc, s0, v5
	v_addc_co_u32_e32 v6, vcc, v0, v6, vcc
	v_lshlrev_b64 v[0:1], 3, v[1:2]
	v_add_co_u32_e32 v0, vcc, v5, v0
	v_addc_co_u32_e32 v1, vcc, v6, v1, vcc
	s_waitcnt vmcnt(0)
	flat_store_dwordx2 v[0:1], v[3:4]
.LBB27_2:
	s_endpgm
	.section	.rodata,"a",@progbits
	.p2align	6, 0x0
	.amdhsa_kernel _ZL40rocblas_copy_triangular_syrk_herk_kernelILb0ELb0ELb0E19rocblas_complex_numIfEPKPS1_Li16ELi16EEviT3_ilPT2_i
		.amdhsa_group_segment_fixed_size 0
		.amdhsa_private_segment_fixed_size 0
		.amdhsa_kernarg_size 304
		.amdhsa_user_sgpr_count 6
		.amdhsa_user_sgpr_private_segment_buffer 1
		.amdhsa_user_sgpr_dispatch_ptr 0
		.amdhsa_user_sgpr_queue_ptr 0
		.amdhsa_user_sgpr_kernarg_segment_ptr 1
		.amdhsa_user_sgpr_dispatch_id 0
		.amdhsa_user_sgpr_flat_scratch_init 0
		.amdhsa_user_sgpr_private_segment_size 0
		.amdhsa_uses_dynamic_stack 0
		.amdhsa_system_sgpr_private_segment_wavefront_offset 0
		.amdhsa_system_sgpr_workgroup_id_x 1
		.amdhsa_system_sgpr_workgroup_id_y 1
		.amdhsa_system_sgpr_workgroup_id_z 1
		.amdhsa_system_sgpr_workgroup_info 0
		.amdhsa_system_vgpr_workitem_id 1
		.amdhsa_next_free_vgpr 7
		.amdhsa_next_free_sgpr 10
		.amdhsa_reserve_vcc 1
		.amdhsa_reserve_flat_scratch 0
		.amdhsa_float_round_mode_32 0
		.amdhsa_float_round_mode_16_64 0
		.amdhsa_float_denorm_mode_32 3
		.amdhsa_float_denorm_mode_16_64 3
		.amdhsa_dx10_clamp 1
		.amdhsa_ieee_mode 1
		.amdhsa_fp16_overflow 0
		.amdhsa_exception_fp_ieee_invalid_op 0
		.amdhsa_exception_fp_denorm_src 0
		.amdhsa_exception_fp_ieee_div_zero 0
		.amdhsa_exception_fp_ieee_overflow 0
		.amdhsa_exception_fp_ieee_underflow 0
		.amdhsa_exception_fp_ieee_inexact 0
		.amdhsa_exception_int_div_zero 0
	.end_amdhsa_kernel
	.section	.text._ZL40rocblas_copy_triangular_syrk_herk_kernelILb0ELb0ELb0E19rocblas_complex_numIfEPKPS1_Li16ELi16EEviT3_ilPT2_i,"axG",@progbits,_ZL40rocblas_copy_triangular_syrk_herk_kernelILb0ELb0ELb0E19rocblas_complex_numIfEPKPS1_Li16ELi16EEviT3_ilPT2_i,comdat
.Lfunc_end27:
	.size	_ZL40rocblas_copy_triangular_syrk_herk_kernelILb0ELb0ELb0E19rocblas_complex_numIfEPKPS1_Li16ELi16EEviT3_ilPT2_i, .Lfunc_end27-_ZL40rocblas_copy_triangular_syrk_herk_kernelILb0ELb0ELb0E19rocblas_complex_numIfEPKPS1_Li16ELi16EEviT3_ilPT2_i
                                        ; -- End function
	.set _ZL40rocblas_copy_triangular_syrk_herk_kernelILb0ELb0ELb0E19rocblas_complex_numIfEPKPS1_Li16ELi16EEviT3_ilPT2_i.num_vgpr, 7
	.set _ZL40rocblas_copy_triangular_syrk_herk_kernelILb0ELb0ELb0E19rocblas_complex_numIfEPKPS1_Li16ELi16EEviT3_ilPT2_i.num_agpr, 0
	.set _ZL40rocblas_copy_triangular_syrk_herk_kernelILb0ELb0ELb0E19rocblas_complex_numIfEPKPS1_Li16ELi16EEviT3_ilPT2_i.numbered_sgpr, 10
	.set _ZL40rocblas_copy_triangular_syrk_herk_kernelILb0ELb0ELb0E19rocblas_complex_numIfEPKPS1_Li16ELi16EEviT3_ilPT2_i.num_named_barrier, 0
	.set _ZL40rocblas_copy_triangular_syrk_herk_kernelILb0ELb0ELb0E19rocblas_complex_numIfEPKPS1_Li16ELi16EEviT3_ilPT2_i.private_seg_size, 0
	.set _ZL40rocblas_copy_triangular_syrk_herk_kernelILb0ELb0ELb0E19rocblas_complex_numIfEPKPS1_Li16ELi16EEviT3_ilPT2_i.uses_vcc, 1
	.set _ZL40rocblas_copy_triangular_syrk_herk_kernelILb0ELb0ELb0E19rocblas_complex_numIfEPKPS1_Li16ELi16EEviT3_ilPT2_i.uses_flat_scratch, 0
	.set _ZL40rocblas_copy_triangular_syrk_herk_kernelILb0ELb0ELb0E19rocblas_complex_numIfEPKPS1_Li16ELi16EEviT3_ilPT2_i.has_dyn_sized_stack, 0
	.set _ZL40rocblas_copy_triangular_syrk_herk_kernelILb0ELb0ELb0E19rocblas_complex_numIfEPKPS1_Li16ELi16EEviT3_ilPT2_i.has_recursion, 0
	.set _ZL40rocblas_copy_triangular_syrk_herk_kernelILb0ELb0ELb0E19rocblas_complex_numIfEPKPS1_Li16ELi16EEviT3_ilPT2_i.has_indirect_call, 0
	.section	.AMDGPU.csdata,"",@progbits
; Kernel info:
; codeLenInByte = 328
; TotalNumSgprs: 14
; NumVgprs: 7
; ScratchSize: 0
; MemoryBound: 0
; FloatMode: 240
; IeeeMode: 1
; LDSByteSize: 0 bytes/workgroup (compile time only)
; SGPRBlocks: 1
; VGPRBlocks: 1
; NumSGPRsForWavesPerEU: 14
; NumVGPRsForWavesPerEU: 7
; Occupancy: 10
; WaveLimiterHint : 1
; COMPUTE_PGM_RSRC2:SCRATCH_EN: 0
; COMPUTE_PGM_RSRC2:USER_SGPR: 6
; COMPUTE_PGM_RSRC2:TRAP_HANDLER: 0
; COMPUTE_PGM_RSRC2:TGID_X_EN: 1
; COMPUTE_PGM_RSRC2:TGID_Y_EN: 1
; COMPUTE_PGM_RSRC2:TGID_Z_EN: 1
; COMPUTE_PGM_RSRC2:TIDIG_COMP_CNT: 1
	.section	.text._ZL40rocblas_copy_triangular_syrk_herk_kernelILb1ELb1ELb0E19rocblas_complex_numIdEPKPS1_Li16ELi16EEviT3_ilPT2_i,"axG",@progbits,_ZL40rocblas_copy_triangular_syrk_herk_kernelILb1ELb1ELb0E19rocblas_complex_numIdEPKPS1_Li16ELi16EEviT3_ilPT2_i,comdat
	.globl	_ZL40rocblas_copy_triangular_syrk_herk_kernelILb1ELb1ELb0E19rocblas_complex_numIdEPKPS1_Li16ELi16EEviT3_ilPT2_i ; -- Begin function _ZL40rocblas_copy_triangular_syrk_herk_kernelILb1ELb1ELb0E19rocblas_complex_numIdEPKPS1_Li16ELi16EEviT3_ilPT2_i
	.p2align	8
	.type	_ZL40rocblas_copy_triangular_syrk_herk_kernelILb1ELb1ELb0E19rocblas_complex_numIdEPKPS1_Li16ELi16EEviT3_ilPT2_i,@function
_ZL40rocblas_copy_triangular_syrk_herk_kernelILb1ELb1ELb0E19rocblas_complex_numIdEPKPS1_Li16ELi16EEviT3_ilPT2_i: ; @_ZL40rocblas_copy_triangular_syrk_herk_kernelILb1ELb1ELb0E19rocblas_complex_numIdEPKPS1_Li16ELi16EEviT3_ilPT2_i
; %bb.0:
	s_load_dword s0, s[4:5], 0x3c
	s_load_dword s2, s[4:5], 0x0
	s_waitcnt lgkmcnt(0)
	s_lshr_b32 s1, s0, 16
	s_and_b32 s0, s0, 0xffff
	s_mul_i32 s7, s7, s1
	s_mul_i32 s6, s6, s0
	v_add_u32_e32 v1, s7, v1
	v_add_u32_e32 v0, s6, v0
	v_max_i32_e32 v2, v1, v0
	v_cmp_gt_i32_e32 vcc, s2, v2
	v_cmp_gt_i32_e64 s[0:1], v1, v0
	s_and_b64 s[0:1], s[0:1], vcc
	s_and_saveexec_b64 s[6:7], s[0:1]
	s_cbranch_execz .LBB28_2
; %bb.1:
	s_add_i32 s3, s2, -1
	s_load_dwordx2 s[0:1], s[4:5], 0x8
	s_load_dword s10, s[4:5], 0x10
	s_load_dwordx2 s[6:7], s[4:5], 0x20
	s_mul_hi_i32 s4, s3, s2
	s_mul_i32 s3, s3, s2
	s_lshr_b32 s2, s4, 31
	s_add_u32 s2, s3, s2
	s_addc_u32 s3, s4, 0
	s_ashr_i64 s[2:3], s[2:3], 1
	s_mul_i32 s3, s3, s8
	s_mul_hi_u32 s4, s2, s8
	s_add_i32 s3, s4, s3
	s_mul_i32 s2, s2, s8
	s_lshl_b64 s[2:3], s[2:3], 4
	s_mov_b32 s9, 0
	s_waitcnt lgkmcnt(0)
	s_add_u32 s4, s6, s2
	s_addc_u32 s5, s7, s3
	s_lshl_b64 s[2:3], s[8:9], 3
	s_add_u32 s0, s0, s2
	s_addc_u32 s1, s1, s3
	v_mad_i64_i32 v[3:4], s[2:3], v0, s10, 0
	s_load_dwordx2 s[0:1], s[0:1], 0x0
	v_ashrrev_i32_e32 v2, 31, v1
	v_lshlrev_b64 v[3:4], 4, v[3:4]
	s_waitcnt lgkmcnt(0)
	v_mov_b32_e32 v5, s1
	v_add_co_u32_e32 v6, vcc, s0, v3
	v_lshlrev_b64 v[2:3], 4, v[1:2]
	v_addc_co_u32_e32 v4, vcc, v5, v4, vcc
	v_add_co_u32_e32 v2, vcc, v6, v2
	v_addc_co_u32_e32 v3, vcc, v4, v3, vcc
	flat_load_dwordx4 v[2:5], v[2:3]
	v_add_u32_e32 v6, -1, v1
	v_mul_lo_u32 v1, v6, v1
	v_lshrrev_b32_e32 v6, 31, v1
	v_add_u32_e32 v1, v1, v6
	v_ashrrev_i32_e32 v1, 1, v1
	v_add_u32_e32 v0, v1, v0
	v_ashrrev_i32_e32 v1, 31, v0
	v_lshlrev_b64 v[0:1], 4, v[0:1]
	v_mov_b32_e32 v6, s5
	v_add_co_u32_e32 v0, vcc, s4, v0
	v_addc_co_u32_e32 v1, vcc, v6, v1, vcc
	s_waitcnt vmcnt(0) lgkmcnt(0)
	global_store_dwordx4 v[0:1], v[2:5], off
.LBB28_2:
	s_endpgm
	.section	.rodata,"a",@progbits
	.p2align	6, 0x0
	.amdhsa_kernel _ZL40rocblas_copy_triangular_syrk_herk_kernelILb1ELb1ELb0E19rocblas_complex_numIdEPKPS1_Li16ELi16EEviT3_ilPT2_i
		.amdhsa_group_segment_fixed_size 0
		.amdhsa_private_segment_fixed_size 0
		.amdhsa_kernarg_size 304
		.amdhsa_user_sgpr_count 6
		.amdhsa_user_sgpr_private_segment_buffer 1
		.amdhsa_user_sgpr_dispatch_ptr 0
		.amdhsa_user_sgpr_queue_ptr 0
		.amdhsa_user_sgpr_kernarg_segment_ptr 1
		.amdhsa_user_sgpr_dispatch_id 0
		.amdhsa_user_sgpr_flat_scratch_init 0
		.amdhsa_user_sgpr_private_segment_size 0
		.amdhsa_uses_dynamic_stack 0
		.amdhsa_system_sgpr_private_segment_wavefront_offset 0
		.amdhsa_system_sgpr_workgroup_id_x 1
		.amdhsa_system_sgpr_workgroup_id_y 1
		.amdhsa_system_sgpr_workgroup_id_z 1
		.amdhsa_system_sgpr_workgroup_info 0
		.amdhsa_system_vgpr_workitem_id 1
		.amdhsa_next_free_vgpr 7
		.amdhsa_next_free_sgpr 11
		.amdhsa_reserve_vcc 1
		.amdhsa_reserve_flat_scratch 0
		.amdhsa_float_round_mode_32 0
		.amdhsa_float_round_mode_16_64 0
		.amdhsa_float_denorm_mode_32 3
		.amdhsa_float_denorm_mode_16_64 3
		.amdhsa_dx10_clamp 1
		.amdhsa_ieee_mode 1
		.amdhsa_fp16_overflow 0
		.amdhsa_exception_fp_ieee_invalid_op 0
		.amdhsa_exception_fp_denorm_src 0
		.amdhsa_exception_fp_ieee_div_zero 0
		.amdhsa_exception_fp_ieee_overflow 0
		.amdhsa_exception_fp_ieee_underflow 0
		.amdhsa_exception_fp_ieee_inexact 0
		.amdhsa_exception_int_div_zero 0
	.end_amdhsa_kernel
	.section	.text._ZL40rocblas_copy_triangular_syrk_herk_kernelILb1ELb1ELb0E19rocblas_complex_numIdEPKPS1_Li16ELi16EEviT3_ilPT2_i,"axG",@progbits,_ZL40rocblas_copy_triangular_syrk_herk_kernelILb1ELb1ELb0E19rocblas_complex_numIdEPKPS1_Li16ELi16EEviT3_ilPT2_i,comdat
.Lfunc_end28:
	.size	_ZL40rocblas_copy_triangular_syrk_herk_kernelILb1ELb1ELb0E19rocblas_complex_numIdEPKPS1_Li16ELi16EEviT3_ilPT2_i, .Lfunc_end28-_ZL40rocblas_copy_triangular_syrk_herk_kernelILb1ELb1ELb0E19rocblas_complex_numIdEPKPS1_Li16ELi16EEviT3_ilPT2_i
                                        ; -- End function
	.set _ZL40rocblas_copy_triangular_syrk_herk_kernelILb1ELb1ELb0E19rocblas_complex_numIdEPKPS1_Li16ELi16EEviT3_ilPT2_i.num_vgpr, 7
	.set _ZL40rocblas_copy_triangular_syrk_herk_kernelILb1ELb1ELb0E19rocblas_complex_numIdEPKPS1_Li16ELi16EEviT3_ilPT2_i.num_agpr, 0
	.set _ZL40rocblas_copy_triangular_syrk_herk_kernelILb1ELb1ELb0E19rocblas_complex_numIdEPKPS1_Li16ELi16EEviT3_ilPT2_i.numbered_sgpr, 11
	.set _ZL40rocblas_copy_triangular_syrk_herk_kernelILb1ELb1ELb0E19rocblas_complex_numIdEPKPS1_Li16ELi16EEviT3_ilPT2_i.num_named_barrier, 0
	.set _ZL40rocblas_copy_triangular_syrk_herk_kernelILb1ELb1ELb0E19rocblas_complex_numIdEPKPS1_Li16ELi16EEviT3_ilPT2_i.private_seg_size, 0
	.set _ZL40rocblas_copy_triangular_syrk_herk_kernelILb1ELb1ELb0E19rocblas_complex_numIdEPKPS1_Li16ELi16EEviT3_ilPT2_i.uses_vcc, 1
	.set _ZL40rocblas_copy_triangular_syrk_herk_kernelILb1ELb1ELb0E19rocblas_complex_numIdEPKPS1_Li16ELi16EEviT3_ilPT2_i.uses_flat_scratch, 0
	.set _ZL40rocblas_copy_triangular_syrk_herk_kernelILb1ELb1ELb0E19rocblas_complex_numIdEPKPS1_Li16ELi16EEviT3_ilPT2_i.has_dyn_sized_stack, 0
	.set _ZL40rocblas_copy_triangular_syrk_herk_kernelILb1ELb1ELb0E19rocblas_complex_numIdEPKPS1_Li16ELi16EEviT3_ilPT2_i.has_recursion, 0
	.set _ZL40rocblas_copy_triangular_syrk_herk_kernelILb1ELb1ELb0E19rocblas_complex_numIdEPKPS1_Li16ELi16EEviT3_ilPT2_i.has_indirect_call, 0
	.section	.AMDGPU.csdata,"",@progbits
; Kernel info:
; codeLenInByte = 312
; TotalNumSgprs: 15
; NumVgprs: 7
; ScratchSize: 0
; MemoryBound: 0
; FloatMode: 240
; IeeeMode: 1
; LDSByteSize: 0 bytes/workgroup (compile time only)
; SGPRBlocks: 1
; VGPRBlocks: 1
; NumSGPRsForWavesPerEU: 15
; NumVGPRsForWavesPerEU: 7
; Occupancy: 10
; WaveLimiterHint : 0
; COMPUTE_PGM_RSRC2:SCRATCH_EN: 0
; COMPUTE_PGM_RSRC2:USER_SGPR: 6
; COMPUTE_PGM_RSRC2:TRAP_HANDLER: 0
; COMPUTE_PGM_RSRC2:TGID_X_EN: 1
; COMPUTE_PGM_RSRC2:TGID_Y_EN: 1
; COMPUTE_PGM_RSRC2:TGID_Z_EN: 1
; COMPUTE_PGM_RSRC2:TIDIG_COMP_CNT: 1
	.section	.text._ZL40rocblas_copy_triangular_syrk_herk_kernelILb1ELb0ELb0E19rocblas_complex_numIdEPKPS1_Li16ELi16EEviT3_ilPT2_i,"axG",@progbits,_ZL40rocblas_copy_triangular_syrk_herk_kernelILb1ELb0ELb0E19rocblas_complex_numIdEPKPS1_Li16ELi16EEviT3_ilPT2_i,comdat
	.globl	_ZL40rocblas_copy_triangular_syrk_herk_kernelILb1ELb0ELb0E19rocblas_complex_numIdEPKPS1_Li16ELi16EEviT3_ilPT2_i ; -- Begin function _ZL40rocblas_copy_triangular_syrk_herk_kernelILb1ELb0ELb0E19rocblas_complex_numIdEPKPS1_Li16ELi16EEviT3_ilPT2_i
	.p2align	8
	.type	_ZL40rocblas_copy_triangular_syrk_herk_kernelILb1ELb0ELb0E19rocblas_complex_numIdEPKPS1_Li16ELi16EEviT3_ilPT2_i,@function
_ZL40rocblas_copy_triangular_syrk_herk_kernelILb1ELb0ELb0E19rocblas_complex_numIdEPKPS1_Li16ELi16EEviT3_ilPT2_i: ; @_ZL40rocblas_copy_triangular_syrk_herk_kernelILb1ELb0ELb0E19rocblas_complex_numIdEPKPS1_Li16ELi16EEviT3_ilPT2_i
; %bb.0:
	s_load_dword s0, s[4:5], 0x3c
	s_load_dword s2, s[4:5], 0x0
	s_waitcnt lgkmcnt(0)
	s_lshr_b32 s1, s0, 16
	s_and_b32 s0, s0, 0xffff
	s_mul_i32 s7, s7, s1
	s_mul_i32 s6, s6, s0
	v_add_u32_e32 v1, s7, v1
	v_add_u32_e32 v0, s6, v0
	v_max_i32_e32 v2, v1, v0
	v_cmp_gt_i32_e32 vcc, s2, v2
	v_cmp_lt_i32_e64 s[0:1], v1, v0
	s_and_b64 s[0:1], s[0:1], vcc
	s_and_saveexec_b64 s[6:7], s[0:1]
	s_cbranch_execz .LBB29_2
; %bb.1:
	s_load_dwordx2 s[0:1], s[4:5], 0x8
	s_load_dword s3, s[4:5], 0x10
	s_load_dwordx2 s[6:7], s[4:5], 0x20
	s_add_i32 s4, s2, -1
	s_mul_hi_i32 s5, s4, s2
	s_mul_i32 s4, s4, s2
	s_lshr_b32 s10, s5, 31
	s_add_u32 s4, s4, s10
	s_addc_u32 s5, s5, 0
	s_ashr_i64 s[4:5], s[4:5], 1
	s_mul_i32 s5, s5, s8
	s_mul_hi_u32 s10, s4, s8
	s_add_i32 s5, s10, s5
	s_mul_i32 s4, s4, s8
	s_lshl_b64 s[4:5], s[4:5], 4
	s_mov_b32 s9, 0
	s_waitcnt lgkmcnt(0)
	s_add_u32 s6, s6, s4
	s_addc_u32 s7, s7, s5
	s_lshl_b64 s[4:5], s[8:9], 3
	s_add_u32 s0, s0, s4
	s_addc_u32 s1, s1, s5
	v_mad_i64_i32 v[3:4], s[4:5], v0, s3, 0
	s_load_dwordx2 s[0:1], s[0:1], 0x0
	v_ashrrev_i32_e32 v2, 31, v1
	v_lshlrev_b64 v[3:4], 4, v[3:4]
	s_waitcnt lgkmcnt(0)
	v_mov_b32_e32 v5, s1
	v_add_co_u32_e32 v6, vcc, s0, v3
	v_lshlrev_b64 v[2:3], 4, v[1:2]
	v_addc_co_u32_e32 v4, vcc, v5, v4, vcc
	v_add_co_u32_e32 v2, vcc, v6, v2
	v_addc_co_u32_e32 v3, vcc, v4, v3, vcc
	flat_load_dwordx4 v[2:5], v[2:3]
	v_not_b32_e32 v6, v1
	v_lshl_add_u32 v7, s2, 1, v6
	v_mul_lo_u32 v1, v7, v1
	v_lshrrev_b32_e32 v7, 31, v1
	v_add_u32_e32 v1, v1, v7
	v_ashrrev_i32_e32 v1, 1, v1
	v_add3_u32 v0, v0, v6, v1
	v_ashrrev_i32_e32 v1, 31, v0
	v_lshlrev_b64 v[0:1], 4, v[0:1]
	v_mov_b32_e32 v6, s7
	v_add_co_u32_e32 v0, vcc, s6, v0
	v_addc_co_u32_e32 v1, vcc, v6, v1, vcc
	s_waitcnt vmcnt(0) lgkmcnt(0)
	global_store_dwordx4 v[0:1], v[2:5], off
.LBB29_2:
	s_endpgm
	.section	.rodata,"a",@progbits
	.p2align	6, 0x0
	.amdhsa_kernel _ZL40rocblas_copy_triangular_syrk_herk_kernelILb1ELb0ELb0E19rocblas_complex_numIdEPKPS1_Li16ELi16EEviT3_ilPT2_i
		.amdhsa_group_segment_fixed_size 0
		.amdhsa_private_segment_fixed_size 0
		.amdhsa_kernarg_size 304
		.amdhsa_user_sgpr_count 6
		.amdhsa_user_sgpr_private_segment_buffer 1
		.amdhsa_user_sgpr_dispatch_ptr 0
		.amdhsa_user_sgpr_queue_ptr 0
		.amdhsa_user_sgpr_kernarg_segment_ptr 1
		.amdhsa_user_sgpr_dispatch_id 0
		.amdhsa_user_sgpr_flat_scratch_init 0
		.amdhsa_user_sgpr_private_segment_size 0
		.amdhsa_uses_dynamic_stack 0
		.amdhsa_system_sgpr_private_segment_wavefront_offset 0
		.amdhsa_system_sgpr_workgroup_id_x 1
		.amdhsa_system_sgpr_workgroup_id_y 1
		.amdhsa_system_sgpr_workgroup_id_z 1
		.amdhsa_system_sgpr_workgroup_info 0
		.amdhsa_system_vgpr_workitem_id 1
		.amdhsa_next_free_vgpr 8
		.amdhsa_next_free_sgpr 11
		.amdhsa_reserve_vcc 1
		.amdhsa_reserve_flat_scratch 0
		.amdhsa_float_round_mode_32 0
		.amdhsa_float_round_mode_16_64 0
		.amdhsa_float_denorm_mode_32 3
		.amdhsa_float_denorm_mode_16_64 3
		.amdhsa_dx10_clamp 1
		.amdhsa_ieee_mode 1
		.amdhsa_fp16_overflow 0
		.amdhsa_exception_fp_ieee_invalid_op 0
		.amdhsa_exception_fp_denorm_src 0
		.amdhsa_exception_fp_ieee_div_zero 0
		.amdhsa_exception_fp_ieee_overflow 0
		.amdhsa_exception_fp_ieee_underflow 0
		.amdhsa_exception_fp_ieee_inexact 0
		.amdhsa_exception_int_div_zero 0
	.end_amdhsa_kernel
	.section	.text._ZL40rocblas_copy_triangular_syrk_herk_kernelILb1ELb0ELb0E19rocblas_complex_numIdEPKPS1_Li16ELi16EEviT3_ilPT2_i,"axG",@progbits,_ZL40rocblas_copy_triangular_syrk_herk_kernelILb1ELb0ELb0E19rocblas_complex_numIdEPKPS1_Li16ELi16EEviT3_ilPT2_i,comdat
.Lfunc_end29:
	.size	_ZL40rocblas_copy_triangular_syrk_herk_kernelILb1ELb0ELb0E19rocblas_complex_numIdEPKPS1_Li16ELi16EEviT3_ilPT2_i, .Lfunc_end29-_ZL40rocblas_copy_triangular_syrk_herk_kernelILb1ELb0ELb0E19rocblas_complex_numIdEPKPS1_Li16ELi16EEviT3_ilPT2_i
                                        ; -- End function
	.set _ZL40rocblas_copy_triangular_syrk_herk_kernelILb1ELb0ELb0E19rocblas_complex_numIdEPKPS1_Li16ELi16EEviT3_ilPT2_i.num_vgpr, 8
	.set _ZL40rocblas_copy_triangular_syrk_herk_kernelILb1ELb0ELb0E19rocblas_complex_numIdEPKPS1_Li16ELi16EEviT3_ilPT2_i.num_agpr, 0
	.set _ZL40rocblas_copy_triangular_syrk_herk_kernelILb1ELb0ELb0E19rocblas_complex_numIdEPKPS1_Li16ELi16EEviT3_ilPT2_i.numbered_sgpr, 11
	.set _ZL40rocblas_copy_triangular_syrk_herk_kernelILb1ELb0ELb0E19rocblas_complex_numIdEPKPS1_Li16ELi16EEviT3_ilPT2_i.num_named_barrier, 0
	.set _ZL40rocblas_copy_triangular_syrk_herk_kernelILb1ELb0ELb0E19rocblas_complex_numIdEPKPS1_Li16ELi16EEviT3_ilPT2_i.private_seg_size, 0
	.set _ZL40rocblas_copy_triangular_syrk_herk_kernelILb1ELb0ELb0E19rocblas_complex_numIdEPKPS1_Li16ELi16EEviT3_ilPT2_i.uses_vcc, 1
	.set _ZL40rocblas_copy_triangular_syrk_herk_kernelILb1ELb0ELb0E19rocblas_complex_numIdEPKPS1_Li16ELi16EEviT3_ilPT2_i.uses_flat_scratch, 0
	.set _ZL40rocblas_copy_triangular_syrk_herk_kernelILb1ELb0ELb0E19rocblas_complex_numIdEPKPS1_Li16ELi16EEviT3_ilPT2_i.has_dyn_sized_stack, 0
	.set _ZL40rocblas_copy_triangular_syrk_herk_kernelILb1ELb0ELb0E19rocblas_complex_numIdEPKPS1_Li16ELi16EEviT3_ilPT2_i.has_recursion, 0
	.set _ZL40rocblas_copy_triangular_syrk_herk_kernelILb1ELb0ELb0E19rocblas_complex_numIdEPKPS1_Li16ELi16EEviT3_ilPT2_i.has_indirect_call, 0
	.section	.AMDGPU.csdata,"",@progbits
; Kernel info:
; codeLenInByte = 324
; TotalNumSgprs: 15
; NumVgprs: 8
; ScratchSize: 0
; MemoryBound: 0
; FloatMode: 240
; IeeeMode: 1
; LDSByteSize: 0 bytes/workgroup (compile time only)
; SGPRBlocks: 1
; VGPRBlocks: 1
; NumSGPRsForWavesPerEU: 15
; NumVGPRsForWavesPerEU: 8
; Occupancy: 10
; WaveLimiterHint : 0
; COMPUTE_PGM_RSRC2:SCRATCH_EN: 0
; COMPUTE_PGM_RSRC2:USER_SGPR: 6
; COMPUTE_PGM_RSRC2:TRAP_HANDLER: 0
; COMPUTE_PGM_RSRC2:TGID_X_EN: 1
; COMPUTE_PGM_RSRC2:TGID_Y_EN: 1
; COMPUTE_PGM_RSRC2:TGID_Z_EN: 1
; COMPUTE_PGM_RSRC2:TIDIG_COMP_CNT: 1
	.section	.text._ZL40rocblas_copy_triangular_syrk_herk_kernelILb0ELb1ELb0E19rocblas_complex_numIdEPKPS1_Li16ELi16EEviT3_ilPT2_i,"axG",@progbits,_ZL40rocblas_copy_triangular_syrk_herk_kernelILb0ELb1ELb0E19rocblas_complex_numIdEPKPS1_Li16ELi16EEviT3_ilPT2_i,comdat
	.globl	_ZL40rocblas_copy_triangular_syrk_herk_kernelILb0ELb1ELb0E19rocblas_complex_numIdEPKPS1_Li16ELi16EEviT3_ilPT2_i ; -- Begin function _ZL40rocblas_copy_triangular_syrk_herk_kernelILb0ELb1ELb0E19rocblas_complex_numIdEPKPS1_Li16ELi16EEviT3_ilPT2_i
	.p2align	8
	.type	_ZL40rocblas_copy_triangular_syrk_herk_kernelILb0ELb1ELb0E19rocblas_complex_numIdEPKPS1_Li16ELi16EEviT3_ilPT2_i,@function
_ZL40rocblas_copy_triangular_syrk_herk_kernelILb0ELb1ELb0E19rocblas_complex_numIdEPKPS1_Li16ELi16EEviT3_ilPT2_i: ; @_ZL40rocblas_copy_triangular_syrk_herk_kernelILb0ELb1ELb0E19rocblas_complex_numIdEPKPS1_Li16ELi16EEviT3_ilPT2_i
; %bb.0:
	s_load_dword s0, s[4:5], 0x3c
	s_load_dword s2, s[4:5], 0x0
	s_waitcnt lgkmcnt(0)
	s_lshr_b32 s1, s0, 16
	s_and_b32 s0, s0, 0xffff
	s_mul_i32 s7, s7, s1
	s_mul_i32 s6, s6, s0
	v_add_u32_e32 v1, s7, v1
	v_add_u32_e32 v0, s6, v0
	v_max_i32_e32 v2, v1, v0
	v_cmp_gt_i32_e32 vcc, s2, v2
	v_cmp_gt_i32_e64 s[0:1], v1, v0
	s_and_b64 s[0:1], s[0:1], vcc
	s_and_saveexec_b64 s[6:7], s[0:1]
	s_cbranch_execz .LBB30_2
; %bb.1:
	v_add_u32_e32 v2, -1, v1
	s_add_i32 s3, s2, -1
	v_mul_lo_u32 v2, v2, v1
	s_mul_hi_i32 s6, s3, s2
	s_mul_i32 s3, s3, s2
	s_lshr_b32 s2, s6, 31
	s_add_u32 s2, s3, s2
	s_load_dwordx2 s[0:1], s[4:5], 0x20
	s_addc_u32 s3, s6, 0
	v_lshrrev_b32_e32 v3, 31, v2
	s_ashr_i64 s[2:3], s[2:3], 1
	v_add_u32_e32 v2, v2, v3
	s_mul_i32 s3, s3, s8
	s_mul_hi_u32 s6, s2, s8
	v_ashrrev_i32_e32 v2, 1, v2
	s_add_i32 s3, s6, s3
	s_mul_i32 s2, s2, s8
	v_add_u32_e32 v2, v2, v0
	s_lshl_b64 s[2:3], s[2:3], 4
	v_ashrrev_i32_e32 v3, 31, v2
	s_waitcnt lgkmcnt(0)
	s_add_u32 s0, s0, s2
	v_lshlrev_b64 v[2:3], 4, v[2:3]
	s_addc_u32 s1, s1, s3
	v_mov_b32_e32 v4, s1
	v_add_co_u32_e32 v2, vcc, s0, v2
	v_addc_co_u32_e32 v3, vcc, v4, v3, vcc
	global_load_dwordx4 v[3:6], v[2:3], off
	s_load_dwordx2 s[0:1], s[4:5], 0x8
	s_load_dword s6, s[4:5], 0x10
	s_mov_b32 s9, 0
	s_lshl_b64 s[2:3], s[8:9], 3
	v_ashrrev_i32_e32 v2, 31, v1
	s_waitcnt lgkmcnt(0)
	s_add_u32 s0, s0, s2
	s_addc_u32 s1, s1, s3
	v_mad_i64_i32 v[7:8], s[2:3], v0, s6, 0
	s_load_dwordx2 s[0:1], s[0:1], 0x0
	v_lshlrev_b64 v[7:8], 4, v[7:8]
	s_waitcnt lgkmcnt(0)
	v_mov_b32_e32 v0, s1
	v_add_co_u32_e32 v7, vcc, s0, v7
	v_addc_co_u32_e32 v8, vcc, v0, v8, vcc
	v_lshlrev_b64 v[0:1], 4, v[1:2]
	v_add_co_u32_e32 v0, vcc, v7, v0
	v_addc_co_u32_e32 v1, vcc, v8, v1, vcc
	s_waitcnt vmcnt(0)
	flat_store_dwordx4 v[0:1], v[3:6]
.LBB30_2:
	s_endpgm
	.section	.rodata,"a",@progbits
	.p2align	6, 0x0
	.amdhsa_kernel _ZL40rocblas_copy_triangular_syrk_herk_kernelILb0ELb1ELb0E19rocblas_complex_numIdEPKPS1_Li16ELi16EEviT3_ilPT2_i
		.amdhsa_group_segment_fixed_size 0
		.amdhsa_private_segment_fixed_size 0
		.amdhsa_kernarg_size 304
		.amdhsa_user_sgpr_count 6
		.amdhsa_user_sgpr_private_segment_buffer 1
		.amdhsa_user_sgpr_dispatch_ptr 0
		.amdhsa_user_sgpr_queue_ptr 0
		.amdhsa_user_sgpr_kernarg_segment_ptr 1
		.amdhsa_user_sgpr_dispatch_id 0
		.amdhsa_user_sgpr_flat_scratch_init 0
		.amdhsa_user_sgpr_private_segment_size 0
		.amdhsa_uses_dynamic_stack 0
		.amdhsa_system_sgpr_private_segment_wavefront_offset 0
		.amdhsa_system_sgpr_workgroup_id_x 1
		.amdhsa_system_sgpr_workgroup_id_y 1
		.amdhsa_system_sgpr_workgroup_id_z 1
		.amdhsa_system_sgpr_workgroup_info 0
		.amdhsa_system_vgpr_workitem_id 1
		.amdhsa_next_free_vgpr 9
		.amdhsa_next_free_sgpr 10
		.amdhsa_reserve_vcc 1
		.amdhsa_reserve_flat_scratch 0
		.amdhsa_float_round_mode_32 0
		.amdhsa_float_round_mode_16_64 0
		.amdhsa_float_denorm_mode_32 3
		.amdhsa_float_denorm_mode_16_64 3
		.amdhsa_dx10_clamp 1
		.amdhsa_ieee_mode 1
		.amdhsa_fp16_overflow 0
		.amdhsa_exception_fp_ieee_invalid_op 0
		.amdhsa_exception_fp_denorm_src 0
		.amdhsa_exception_fp_ieee_div_zero 0
		.amdhsa_exception_fp_ieee_overflow 0
		.amdhsa_exception_fp_ieee_underflow 0
		.amdhsa_exception_fp_ieee_inexact 0
		.amdhsa_exception_int_div_zero 0
	.end_amdhsa_kernel
	.section	.text._ZL40rocblas_copy_triangular_syrk_herk_kernelILb0ELb1ELb0E19rocblas_complex_numIdEPKPS1_Li16ELi16EEviT3_ilPT2_i,"axG",@progbits,_ZL40rocblas_copy_triangular_syrk_herk_kernelILb0ELb1ELb0E19rocblas_complex_numIdEPKPS1_Li16ELi16EEviT3_ilPT2_i,comdat
.Lfunc_end30:
	.size	_ZL40rocblas_copy_triangular_syrk_herk_kernelILb0ELb1ELb0E19rocblas_complex_numIdEPKPS1_Li16ELi16EEviT3_ilPT2_i, .Lfunc_end30-_ZL40rocblas_copy_triangular_syrk_herk_kernelILb0ELb1ELb0E19rocblas_complex_numIdEPKPS1_Li16ELi16EEviT3_ilPT2_i
                                        ; -- End function
	.set _ZL40rocblas_copy_triangular_syrk_herk_kernelILb0ELb1ELb0E19rocblas_complex_numIdEPKPS1_Li16ELi16EEviT3_ilPT2_i.num_vgpr, 9
	.set _ZL40rocblas_copy_triangular_syrk_herk_kernelILb0ELb1ELb0E19rocblas_complex_numIdEPKPS1_Li16ELi16EEviT3_ilPT2_i.num_agpr, 0
	.set _ZL40rocblas_copy_triangular_syrk_herk_kernelILb0ELb1ELb0E19rocblas_complex_numIdEPKPS1_Li16ELi16EEviT3_ilPT2_i.numbered_sgpr, 10
	.set _ZL40rocblas_copy_triangular_syrk_herk_kernelILb0ELb1ELb0E19rocblas_complex_numIdEPKPS1_Li16ELi16EEviT3_ilPT2_i.num_named_barrier, 0
	.set _ZL40rocblas_copy_triangular_syrk_herk_kernelILb0ELb1ELb0E19rocblas_complex_numIdEPKPS1_Li16ELi16EEviT3_ilPT2_i.private_seg_size, 0
	.set _ZL40rocblas_copy_triangular_syrk_herk_kernelILb0ELb1ELb0E19rocblas_complex_numIdEPKPS1_Li16ELi16EEviT3_ilPT2_i.uses_vcc, 1
	.set _ZL40rocblas_copy_triangular_syrk_herk_kernelILb0ELb1ELb0E19rocblas_complex_numIdEPKPS1_Li16ELi16EEviT3_ilPT2_i.uses_flat_scratch, 0
	.set _ZL40rocblas_copy_triangular_syrk_herk_kernelILb0ELb1ELb0E19rocblas_complex_numIdEPKPS1_Li16ELi16EEviT3_ilPT2_i.has_dyn_sized_stack, 0
	.set _ZL40rocblas_copy_triangular_syrk_herk_kernelILb0ELb1ELb0E19rocblas_complex_numIdEPKPS1_Li16ELi16EEviT3_ilPT2_i.has_recursion, 0
	.set _ZL40rocblas_copy_triangular_syrk_herk_kernelILb0ELb1ELb0E19rocblas_complex_numIdEPKPS1_Li16ELi16EEviT3_ilPT2_i.has_indirect_call, 0
	.section	.AMDGPU.csdata,"",@progbits
; Kernel info:
; codeLenInByte = 316
; TotalNumSgprs: 14
; NumVgprs: 9
; ScratchSize: 0
; MemoryBound: 0
; FloatMode: 240
; IeeeMode: 1
; LDSByteSize: 0 bytes/workgroup (compile time only)
; SGPRBlocks: 1
; VGPRBlocks: 2
; NumSGPRsForWavesPerEU: 14
; NumVGPRsForWavesPerEU: 9
; Occupancy: 10
; WaveLimiterHint : 1
; COMPUTE_PGM_RSRC2:SCRATCH_EN: 0
; COMPUTE_PGM_RSRC2:USER_SGPR: 6
; COMPUTE_PGM_RSRC2:TRAP_HANDLER: 0
; COMPUTE_PGM_RSRC2:TGID_X_EN: 1
; COMPUTE_PGM_RSRC2:TGID_Y_EN: 1
; COMPUTE_PGM_RSRC2:TGID_Z_EN: 1
; COMPUTE_PGM_RSRC2:TIDIG_COMP_CNT: 1
	.section	.text._ZL40rocblas_copy_triangular_syrk_herk_kernelILb0ELb0ELb0E19rocblas_complex_numIdEPKPS1_Li16ELi16EEviT3_ilPT2_i,"axG",@progbits,_ZL40rocblas_copy_triangular_syrk_herk_kernelILb0ELb0ELb0E19rocblas_complex_numIdEPKPS1_Li16ELi16EEviT3_ilPT2_i,comdat
	.globl	_ZL40rocblas_copy_triangular_syrk_herk_kernelILb0ELb0ELb0E19rocblas_complex_numIdEPKPS1_Li16ELi16EEviT3_ilPT2_i ; -- Begin function _ZL40rocblas_copy_triangular_syrk_herk_kernelILb0ELb0ELb0E19rocblas_complex_numIdEPKPS1_Li16ELi16EEviT3_ilPT2_i
	.p2align	8
	.type	_ZL40rocblas_copy_triangular_syrk_herk_kernelILb0ELb0ELb0E19rocblas_complex_numIdEPKPS1_Li16ELi16EEviT3_ilPT2_i,@function
_ZL40rocblas_copy_triangular_syrk_herk_kernelILb0ELb0ELb0E19rocblas_complex_numIdEPKPS1_Li16ELi16EEviT3_ilPT2_i: ; @_ZL40rocblas_copy_triangular_syrk_herk_kernelILb0ELb0ELb0E19rocblas_complex_numIdEPKPS1_Li16ELi16EEviT3_ilPT2_i
; %bb.0:
	s_load_dword s0, s[4:5], 0x3c
	s_load_dword s2, s[4:5], 0x0
	s_waitcnt lgkmcnt(0)
	s_lshr_b32 s1, s0, 16
	s_and_b32 s0, s0, 0xffff
	s_mul_i32 s7, s7, s1
	s_mul_i32 s6, s6, s0
	v_add_u32_e32 v1, s7, v1
	v_add_u32_e32 v0, s6, v0
	v_max_i32_e32 v2, v1, v0
	v_cmp_gt_i32_e32 vcc, s2, v2
	v_cmp_lt_i32_e64 s[0:1], v1, v0
	s_and_b64 s[0:1], s[0:1], vcc
	s_and_saveexec_b64 s[6:7], s[0:1]
	s_cbranch_execz .LBB31_2
; %bb.1:
	v_not_b32_e32 v2, v1
	v_lshl_add_u32 v3, s2, 1, v2
	s_add_i32 s3, s2, -1
	v_mul_lo_u32 v3, v3, v1
	s_mul_hi_i32 s7, s3, s2
	s_mul_i32 s3, s3, s2
	s_lshr_b32 s6, s7, 31
	s_add_u32 s6, s3, s6
	s_load_dwordx2 s[0:1], s[4:5], 0x20
	s_addc_u32 s7, s7, 0
	v_lshrrev_b32_e32 v4, 31, v3
	s_ashr_i64 s[6:7], s[6:7], 1
	v_add_u32_e32 v3, v3, v4
	s_mul_i32 s3, s7, s8
	s_mul_hi_u32 s7, s6, s8
	v_ashrrev_i32_e32 v3, 1, v3
	s_add_i32 s7, s7, s3
	s_mul_i32 s6, s6, s8
	v_add3_u32 v2, v0, v2, v3
	s_lshl_b64 s[2:3], s[6:7], 4
	v_ashrrev_i32_e32 v3, 31, v2
	s_waitcnt lgkmcnt(0)
	s_add_u32 s0, s0, s2
	v_lshlrev_b64 v[2:3], 4, v[2:3]
	s_addc_u32 s1, s1, s3
	v_mov_b32_e32 v4, s1
	v_add_co_u32_e32 v2, vcc, s0, v2
	v_addc_co_u32_e32 v3, vcc, v4, v3, vcc
	global_load_dwordx4 v[3:6], v[2:3], off
	s_load_dwordx2 s[0:1], s[4:5], 0x8
	s_load_dword s6, s[4:5], 0x10
	s_mov_b32 s9, 0
	s_lshl_b64 s[2:3], s[8:9], 3
	v_ashrrev_i32_e32 v2, 31, v1
	s_waitcnt lgkmcnt(0)
	s_add_u32 s0, s0, s2
	s_addc_u32 s1, s1, s3
	v_mad_i64_i32 v[7:8], s[2:3], v0, s6, 0
	s_load_dwordx2 s[0:1], s[0:1], 0x0
	v_lshlrev_b64 v[7:8], 4, v[7:8]
	s_waitcnt lgkmcnt(0)
	v_mov_b32_e32 v0, s1
	v_add_co_u32_e32 v7, vcc, s0, v7
	v_addc_co_u32_e32 v8, vcc, v0, v8, vcc
	v_lshlrev_b64 v[0:1], 4, v[1:2]
	v_add_co_u32_e32 v0, vcc, v7, v0
	v_addc_co_u32_e32 v1, vcc, v8, v1, vcc
	s_waitcnt vmcnt(0)
	flat_store_dwordx4 v[0:1], v[3:6]
.LBB31_2:
	s_endpgm
	.section	.rodata,"a",@progbits
	.p2align	6, 0x0
	.amdhsa_kernel _ZL40rocblas_copy_triangular_syrk_herk_kernelILb0ELb0ELb0E19rocblas_complex_numIdEPKPS1_Li16ELi16EEviT3_ilPT2_i
		.amdhsa_group_segment_fixed_size 0
		.amdhsa_private_segment_fixed_size 0
		.amdhsa_kernarg_size 304
		.amdhsa_user_sgpr_count 6
		.amdhsa_user_sgpr_private_segment_buffer 1
		.amdhsa_user_sgpr_dispatch_ptr 0
		.amdhsa_user_sgpr_queue_ptr 0
		.amdhsa_user_sgpr_kernarg_segment_ptr 1
		.amdhsa_user_sgpr_dispatch_id 0
		.amdhsa_user_sgpr_flat_scratch_init 0
		.amdhsa_user_sgpr_private_segment_size 0
		.amdhsa_uses_dynamic_stack 0
		.amdhsa_system_sgpr_private_segment_wavefront_offset 0
		.amdhsa_system_sgpr_workgroup_id_x 1
		.amdhsa_system_sgpr_workgroup_id_y 1
		.amdhsa_system_sgpr_workgroup_id_z 1
		.amdhsa_system_sgpr_workgroup_info 0
		.amdhsa_system_vgpr_workitem_id 1
		.amdhsa_next_free_vgpr 9
		.amdhsa_next_free_sgpr 10
		.amdhsa_reserve_vcc 1
		.amdhsa_reserve_flat_scratch 0
		.amdhsa_float_round_mode_32 0
		.amdhsa_float_round_mode_16_64 0
		.amdhsa_float_denorm_mode_32 3
		.amdhsa_float_denorm_mode_16_64 3
		.amdhsa_dx10_clamp 1
		.amdhsa_ieee_mode 1
		.amdhsa_fp16_overflow 0
		.amdhsa_exception_fp_ieee_invalid_op 0
		.amdhsa_exception_fp_denorm_src 0
		.amdhsa_exception_fp_ieee_div_zero 0
		.amdhsa_exception_fp_ieee_overflow 0
		.amdhsa_exception_fp_ieee_underflow 0
		.amdhsa_exception_fp_ieee_inexact 0
		.amdhsa_exception_int_div_zero 0
	.end_amdhsa_kernel
	.section	.text._ZL40rocblas_copy_triangular_syrk_herk_kernelILb0ELb0ELb0E19rocblas_complex_numIdEPKPS1_Li16ELi16EEviT3_ilPT2_i,"axG",@progbits,_ZL40rocblas_copy_triangular_syrk_herk_kernelILb0ELb0ELb0E19rocblas_complex_numIdEPKPS1_Li16ELi16EEviT3_ilPT2_i,comdat
.Lfunc_end31:
	.size	_ZL40rocblas_copy_triangular_syrk_herk_kernelILb0ELb0ELb0E19rocblas_complex_numIdEPKPS1_Li16ELi16EEviT3_ilPT2_i, .Lfunc_end31-_ZL40rocblas_copy_triangular_syrk_herk_kernelILb0ELb0ELb0E19rocblas_complex_numIdEPKPS1_Li16ELi16EEviT3_ilPT2_i
                                        ; -- End function
	.set _ZL40rocblas_copy_triangular_syrk_herk_kernelILb0ELb0ELb0E19rocblas_complex_numIdEPKPS1_Li16ELi16EEviT3_ilPT2_i.num_vgpr, 9
	.set _ZL40rocblas_copy_triangular_syrk_herk_kernelILb0ELb0ELb0E19rocblas_complex_numIdEPKPS1_Li16ELi16EEviT3_ilPT2_i.num_agpr, 0
	.set _ZL40rocblas_copy_triangular_syrk_herk_kernelILb0ELb0ELb0E19rocblas_complex_numIdEPKPS1_Li16ELi16EEviT3_ilPT2_i.numbered_sgpr, 10
	.set _ZL40rocblas_copy_triangular_syrk_herk_kernelILb0ELb0ELb0E19rocblas_complex_numIdEPKPS1_Li16ELi16EEviT3_ilPT2_i.num_named_barrier, 0
	.set _ZL40rocblas_copy_triangular_syrk_herk_kernelILb0ELb0ELb0E19rocblas_complex_numIdEPKPS1_Li16ELi16EEviT3_ilPT2_i.private_seg_size, 0
	.set _ZL40rocblas_copy_triangular_syrk_herk_kernelILb0ELb0ELb0E19rocblas_complex_numIdEPKPS1_Li16ELi16EEviT3_ilPT2_i.uses_vcc, 1
	.set _ZL40rocblas_copy_triangular_syrk_herk_kernelILb0ELb0ELb0E19rocblas_complex_numIdEPKPS1_Li16ELi16EEviT3_ilPT2_i.uses_flat_scratch, 0
	.set _ZL40rocblas_copy_triangular_syrk_herk_kernelILb0ELb0ELb0E19rocblas_complex_numIdEPKPS1_Li16ELi16EEviT3_ilPT2_i.has_dyn_sized_stack, 0
	.set _ZL40rocblas_copy_triangular_syrk_herk_kernelILb0ELb0ELb0E19rocblas_complex_numIdEPKPS1_Li16ELi16EEviT3_ilPT2_i.has_recursion, 0
	.set _ZL40rocblas_copy_triangular_syrk_herk_kernelILb0ELb0ELb0E19rocblas_complex_numIdEPKPS1_Li16ELi16EEviT3_ilPT2_i.has_indirect_call, 0
	.section	.AMDGPU.csdata,"",@progbits
; Kernel info:
; codeLenInByte = 328
; TotalNumSgprs: 14
; NumVgprs: 9
; ScratchSize: 0
; MemoryBound: 0
; FloatMode: 240
; IeeeMode: 1
; LDSByteSize: 0 bytes/workgroup (compile time only)
; SGPRBlocks: 1
; VGPRBlocks: 2
; NumSGPRsForWavesPerEU: 14
; NumVGPRsForWavesPerEU: 9
; Occupancy: 10
; WaveLimiterHint : 1
; COMPUTE_PGM_RSRC2:SCRATCH_EN: 0
; COMPUTE_PGM_RSRC2:USER_SGPR: 6
; COMPUTE_PGM_RSRC2:TRAP_HANDLER: 0
; COMPUTE_PGM_RSRC2:TGID_X_EN: 1
; COMPUTE_PGM_RSRC2:TGID_Y_EN: 1
; COMPUTE_PGM_RSRC2:TGID_Z_EN: 1
; COMPUTE_PGM_RSRC2:TIDIG_COMP_CNT: 1
	.section	.text._ZL40rocblas_copy_triangular_syrk_herk_kernelILb1ELb1ELb1E19rocblas_complex_numIfEPS1_Li16ELi16EEviT3_ilPT2_i,"axG",@progbits,_ZL40rocblas_copy_triangular_syrk_herk_kernelILb1ELb1ELb1E19rocblas_complex_numIfEPS1_Li16ELi16EEviT3_ilPT2_i,comdat
	.globl	_ZL40rocblas_copy_triangular_syrk_herk_kernelILb1ELb1ELb1E19rocblas_complex_numIfEPS1_Li16ELi16EEviT3_ilPT2_i ; -- Begin function _ZL40rocblas_copy_triangular_syrk_herk_kernelILb1ELb1ELb1E19rocblas_complex_numIfEPS1_Li16ELi16EEviT3_ilPT2_i
	.p2align	8
	.type	_ZL40rocblas_copy_triangular_syrk_herk_kernelILb1ELb1ELb1E19rocblas_complex_numIfEPS1_Li16ELi16EEviT3_ilPT2_i,@function
_ZL40rocblas_copy_triangular_syrk_herk_kernelILb1ELb1ELb1E19rocblas_complex_numIfEPS1_Li16ELi16EEviT3_ilPT2_i: ; @_ZL40rocblas_copy_triangular_syrk_herk_kernelILb1ELb1ELb1E19rocblas_complex_numIfEPS1_Li16ELi16EEviT3_ilPT2_i
; %bb.0:
	s_load_dword s0, s[4:5], 0x3c
	s_load_dword s2, s[4:5], 0x0
	s_waitcnt lgkmcnt(0)
	s_lshr_b32 s1, s0, 16
	s_and_b32 s0, s0, 0xffff
	s_mul_i32 s7, s7, s1
	s_mul_i32 s6, s6, s0
	v_add_u32_e32 v1, s7, v1
	v_add_u32_e32 v0, s6, v0
	v_max_i32_e32 v2, v1, v0
	v_cmp_gt_i32_e32 vcc, s2, v2
	v_cmp_gt_i32_e64 s[0:1], v1, v0
	s_and_b64 s[0:1], s[0:1], vcc
	s_and_saveexec_b64 s[6:7], s[0:1]
	s_cbranch_execz .LBB32_2
; %bb.1:
	s_add_i32 s3, s2, -1
	s_load_dwordx2 s[0:1], s[4:5], 0x8
	s_load_dword s6, s[4:5], 0x10
	s_load_dwordx4 s[12:15], s[4:5], 0x18
	s_mul_hi_i32 s4, s3, s2
	s_mul_i32 s3, s3, s2
	s_lshr_b32 s2, s4, 31
	s_add_u32 s2, s3, s2
	s_addc_u32 s3, s4, 0
	s_ashr_i64 s[2:3], s[2:3], 1
	s_mul_i32 s3, s3, s8
	s_mul_hi_u32 s4, s2, s8
	s_add_i32 s3, s4, s3
	s_mul_i32 s2, s2, s8
	s_lshl_b64 s[2:3], s[2:3], 3
	s_waitcnt lgkmcnt(0)
	s_add_u32 s7, s14, s2
	v_mad_i64_i32 v[3:4], s[4:5], v0, s6, 0
	s_addc_u32 s9, s15, s3
	s_mul_i32 s2, s13, s8
	s_mul_hi_u32 s3, s12, s8
	s_add_i32 s3, s3, s2
	s_mul_i32 s2, s12, s8
	s_lshl_b64 s[2:3], s[2:3], 3
	s_add_u32 s0, s0, s2
	v_lshlrev_b64 v[3:4], 3, v[3:4]
	s_addc_u32 s1, s1, s3
	v_ashrrev_i32_e32 v2, 31, v1
	v_mov_b32_e32 v5, s1
	v_add_co_u32_e32 v6, vcc, s0, v3
	v_lshlrev_b64 v[2:3], 3, v[1:2]
	v_addc_co_u32_e32 v4, vcc, v5, v4, vcc
	v_add_co_u32_e32 v2, vcc, v6, v2
	v_addc_co_u32_e32 v3, vcc, v4, v3, vcc
	global_load_dwordx2 v[2:3], v[2:3], off
	v_add_u32_e32 v4, -1, v1
	v_mul_lo_u32 v1, v4, v1
	v_lshrrev_b32_e32 v4, 31, v1
	v_add_u32_e32 v1, v1, v4
	v_ashrrev_i32_e32 v1, 1, v1
	v_add_u32_e32 v0, v1, v0
	v_ashrrev_i32_e32 v1, 31, v0
	v_lshlrev_b64 v[0:1], 3, v[0:1]
	v_mov_b32_e32 v4, s9
	v_add_co_u32_e32 v0, vcc, s7, v0
	v_addc_co_u32_e32 v1, vcc, v4, v1, vcc
	s_waitcnt vmcnt(0)
	global_store_dwordx2 v[0:1], v[2:3], off
.LBB32_2:
	s_endpgm
	.section	.rodata,"a",@progbits
	.p2align	6, 0x0
	.amdhsa_kernel _ZL40rocblas_copy_triangular_syrk_herk_kernelILb1ELb1ELb1E19rocblas_complex_numIfEPS1_Li16ELi16EEviT3_ilPT2_i
		.amdhsa_group_segment_fixed_size 0
		.amdhsa_private_segment_fixed_size 0
		.amdhsa_kernarg_size 304
		.amdhsa_user_sgpr_count 6
		.amdhsa_user_sgpr_private_segment_buffer 1
		.amdhsa_user_sgpr_dispatch_ptr 0
		.amdhsa_user_sgpr_queue_ptr 0
		.amdhsa_user_sgpr_kernarg_segment_ptr 1
		.amdhsa_user_sgpr_dispatch_id 0
		.amdhsa_user_sgpr_flat_scratch_init 0
		.amdhsa_user_sgpr_private_segment_size 0
		.amdhsa_uses_dynamic_stack 0
		.amdhsa_system_sgpr_private_segment_wavefront_offset 0
		.amdhsa_system_sgpr_workgroup_id_x 1
		.amdhsa_system_sgpr_workgroup_id_y 1
		.amdhsa_system_sgpr_workgroup_id_z 1
		.amdhsa_system_sgpr_workgroup_info 0
		.amdhsa_system_vgpr_workitem_id 1
		.amdhsa_next_free_vgpr 7
		.amdhsa_next_free_sgpr 16
		.amdhsa_reserve_vcc 1
		.amdhsa_reserve_flat_scratch 0
		.amdhsa_float_round_mode_32 0
		.amdhsa_float_round_mode_16_64 0
		.amdhsa_float_denorm_mode_32 3
		.amdhsa_float_denorm_mode_16_64 3
		.amdhsa_dx10_clamp 1
		.amdhsa_ieee_mode 1
		.amdhsa_fp16_overflow 0
		.amdhsa_exception_fp_ieee_invalid_op 0
		.amdhsa_exception_fp_denorm_src 0
		.amdhsa_exception_fp_ieee_div_zero 0
		.amdhsa_exception_fp_ieee_overflow 0
		.amdhsa_exception_fp_ieee_underflow 0
		.amdhsa_exception_fp_ieee_inexact 0
		.amdhsa_exception_int_div_zero 0
	.end_amdhsa_kernel
	.section	.text._ZL40rocblas_copy_triangular_syrk_herk_kernelILb1ELb1ELb1E19rocblas_complex_numIfEPS1_Li16ELi16EEviT3_ilPT2_i,"axG",@progbits,_ZL40rocblas_copy_triangular_syrk_herk_kernelILb1ELb1ELb1E19rocblas_complex_numIfEPS1_Li16ELi16EEviT3_ilPT2_i,comdat
.Lfunc_end32:
	.size	_ZL40rocblas_copy_triangular_syrk_herk_kernelILb1ELb1ELb1E19rocblas_complex_numIfEPS1_Li16ELi16EEviT3_ilPT2_i, .Lfunc_end32-_ZL40rocblas_copy_triangular_syrk_herk_kernelILb1ELb1ELb1E19rocblas_complex_numIfEPS1_Li16ELi16EEviT3_ilPT2_i
                                        ; -- End function
	.set _ZL40rocblas_copy_triangular_syrk_herk_kernelILb1ELb1ELb1E19rocblas_complex_numIfEPS1_Li16ELi16EEviT3_ilPT2_i.num_vgpr, 7
	.set _ZL40rocblas_copy_triangular_syrk_herk_kernelILb1ELb1ELb1E19rocblas_complex_numIfEPS1_Li16ELi16EEviT3_ilPT2_i.num_agpr, 0
	.set _ZL40rocblas_copy_triangular_syrk_herk_kernelILb1ELb1ELb1E19rocblas_complex_numIfEPS1_Li16ELi16EEviT3_ilPT2_i.numbered_sgpr, 16
	.set _ZL40rocblas_copy_triangular_syrk_herk_kernelILb1ELb1ELb1E19rocblas_complex_numIfEPS1_Li16ELi16EEviT3_ilPT2_i.num_named_barrier, 0
	.set _ZL40rocblas_copy_triangular_syrk_herk_kernelILb1ELb1ELb1E19rocblas_complex_numIfEPS1_Li16ELi16EEviT3_ilPT2_i.private_seg_size, 0
	.set _ZL40rocblas_copy_triangular_syrk_herk_kernelILb1ELb1ELb1E19rocblas_complex_numIfEPS1_Li16ELi16EEviT3_ilPT2_i.uses_vcc, 1
	.set _ZL40rocblas_copy_triangular_syrk_herk_kernelILb1ELb1ELb1E19rocblas_complex_numIfEPS1_Li16ELi16EEviT3_ilPT2_i.uses_flat_scratch, 0
	.set _ZL40rocblas_copy_triangular_syrk_herk_kernelILb1ELb1ELb1E19rocblas_complex_numIfEPS1_Li16ELi16EEviT3_ilPT2_i.has_dyn_sized_stack, 0
	.set _ZL40rocblas_copy_triangular_syrk_herk_kernelILb1ELb1ELb1E19rocblas_complex_numIfEPS1_Li16ELi16EEviT3_ilPT2_i.has_recursion, 0
	.set _ZL40rocblas_copy_triangular_syrk_herk_kernelILb1ELb1ELb1E19rocblas_complex_numIfEPS1_Li16ELi16EEviT3_ilPT2_i.has_indirect_call, 0
	.section	.AMDGPU.csdata,"",@progbits
; Kernel info:
; codeLenInByte = 312
; TotalNumSgprs: 20
; NumVgprs: 7
; ScratchSize: 0
; MemoryBound: 0
; FloatMode: 240
; IeeeMode: 1
; LDSByteSize: 0 bytes/workgroup (compile time only)
; SGPRBlocks: 2
; VGPRBlocks: 1
; NumSGPRsForWavesPerEU: 20
; NumVGPRsForWavesPerEU: 7
; Occupancy: 10
; WaveLimiterHint : 0
; COMPUTE_PGM_RSRC2:SCRATCH_EN: 0
; COMPUTE_PGM_RSRC2:USER_SGPR: 6
; COMPUTE_PGM_RSRC2:TRAP_HANDLER: 0
; COMPUTE_PGM_RSRC2:TGID_X_EN: 1
; COMPUTE_PGM_RSRC2:TGID_Y_EN: 1
; COMPUTE_PGM_RSRC2:TGID_Z_EN: 1
; COMPUTE_PGM_RSRC2:TIDIG_COMP_CNT: 1
	.section	.text._ZL40rocblas_copy_triangular_syrk_herk_kernelILb1ELb0ELb1E19rocblas_complex_numIfEPS1_Li16ELi16EEviT3_ilPT2_i,"axG",@progbits,_ZL40rocblas_copy_triangular_syrk_herk_kernelILb1ELb0ELb1E19rocblas_complex_numIfEPS1_Li16ELi16EEviT3_ilPT2_i,comdat
	.globl	_ZL40rocblas_copy_triangular_syrk_herk_kernelILb1ELb0ELb1E19rocblas_complex_numIfEPS1_Li16ELi16EEviT3_ilPT2_i ; -- Begin function _ZL40rocblas_copy_triangular_syrk_herk_kernelILb1ELb0ELb1E19rocblas_complex_numIfEPS1_Li16ELi16EEviT3_ilPT2_i
	.p2align	8
	.type	_ZL40rocblas_copy_triangular_syrk_herk_kernelILb1ELb0ELb1E19rocblas_complex_numIfEPS1_Li16ELi16EEviT3_ilPT2_i,@function
_ZL40rocblas_copy_triangular_syrk_herk_kernelILb1ELb0ELb1E19rocblas_complex_numIfEPS1_Li16ELi16EEviT3_ilPT2_i: ; @_ZL40rocblas_copy_triangular_syrk_herk_kernelILb1ELb0ELb1E19rocblas_complex_numIfEPS1_Li16ELi16EEviT3_ilPT2_i
; %bb.0:
	s_load_dword s0, s[4:5], 0x3c
	s_load_dword s2, s[4:5], 0x0
	s_waitcnt lgkmcnt(0)
	s_lshr_b32 s1, s0, 16
	s_and_b32 s0, s0, 0xffff
	s_mul_i32 s7, s7, s1
	s_mul_i32 s6, s6, s0
	v_add_u32_e32 v1, s7, v1
	v_add_u32_e32 v0, s6, v0
	v_max_i32_e32 v2, v1, v0
	v_cmp_gt_i32_e32 vcc, s2, v2
	v_cmp_lt_i32_e64 s[0:1], v1, v0
	s_and_b64 s[0:1], s[0:1], vcc
	s_and_saveexec_b64 s[6:7], s[0:1]
	s_cbranch_execz .LBB33_2
; %bb.1:
	s_load_dwordx2 s[0:1], s[4:5], 0x8
	s_load_dword s3, s[4:5], 0x10
	s_load_dwordx4 s[12:15], s[4:5], 0x18
	s_add_i32 s4, s2, -1
	s_mul_hi_i32 s5, s4, s2
	s_mul_i32 s4, s4, s2
	s_lshr_b32 s6, s5, 31
	s_add_u32 s4, s4, s6
	s_addc_u32 s5, s5, 0
	s_ashr_i64 s[4:5], s[4:5], 1
	s_mul_i32 s5, s5, s8
	s_mul_hi_u32 s6, s4, s8
	s_add_i32 s5, s6, s5
	s_mul_i32 s4, s4, s8
	s_lshl_b64 s[4:5], s[4:5], 3
	s_waitcnt lgkmcnt(0)
	s_add_u32 s9, s14, s4
	v_mad_i64_i32 v[3:4], s[6:7], v0, s3, 0
	s_addc_u32 s10, s15, s5
	s_mul_i32 s4, s13, s8
	s_mul_hi_u32 s5, s12, s8
	s_add_i32 s5, s5, s4
	s_mul_i32 s4, s12, s8
	s_lshl_b64 s[4:5], s[4:5], 3
	s_add_u32 s0, s0, s4
	v_lshlrev_b64 v[3:4], 3, v[3:4]
	s_addc_u32 s1, s1, s5
	v_ashrrev_i32_e32 v2, 31, v1
	v_mov_b32_e32 v5, s1
	v_add_co_u32_e32 v6, vcc, s0, v3
	v_lshlrev_b64 v[2:3], 3, v[1:2]
	v_addc_co_u32_e32 v4, vcc, v5, v4, vcc
	v_add_co_u32_e32 v2, vcc, v6, v2
	v_addc_co_u32_e32 v3, vcc, v4, v3, vcc
	global_load_dwordx2 v[2:3], v[2:3], off
	v_not_b32_e32 v4, v1
	v_lshl_add_u32 v5, s2, 1, v4
	v_mul_lo_u32 v1, v5, v1
	v_lshrrev_b32_e32 v5, 31, v1
	v_add_u32_e32 v1, v1, v5
	v_ashrrev_i32_e32 v1, 1, v1
	v_add3_u32 v0, v0, v4, v1
	v_ashrrev_i32_e32 v1, 31, v0
	v_lshlrev_b64 v[0:1], 3, v[0:1]
	v_mov_b32_e32 v4, s10
	v_add_co_u32_e32 v0, vcc, s9, v0
	v_addc_co_u32_e32 v1, vcc, v4, v1, vcc
	s_waitcnt vmcnt(0)
	global_store_dwordx2 v[0:1], v[2:3], off
.LBB33_2:
	s_endpgm
	.section	.rodata,"a",@progbits
	.p2align	6, 0x0
	.amdhsa_kernel _ZL40rocblas_copy_triangular_syrk_herk_kernelILb1ELb0ELb1E19rocblas_complex_numIfEPS1_Li16ELi16EEviT3_ilPT2_i
		.amdhsa_group_segment_fixed_size 0
		.amdhsa_private_segment_fixed_size 0
		.amdhsa_kernarg_size 304
		.amdhsa_user_sgpr_count 6
		.amdhsa_user_sgpr_private_segment_buffer 1
		.amdhsa_user_sgpr_dispatch_ptr 0
		.amdhsa_user_sgpr_queue_ptr 0
		.amdhsa_user_sgpr_kernarg_segment_ptr 1
		.amdhsa_user_sgpr_dispatch_id 0
		.amdhsa_user_sgpr_flat_scratch_init 0
		.amdhsa_user_sgpr_private_segment_size 0
		.amdhsa_uses_dynamic_stack 0
		.amdhsa_system_sgpr_private_segment_wavefront_offset 0
		.amdhsa_system_sgpr_workgroup_id_x 1
		.amdhsa_system_sgpr_workgroup_id_y 1
		.amdhsa_system_sgpr_workgroup_id_z 1
		.amdhsa_system_sgpr_workgroup_info 0
		.amdhsa_system_vgpr_workitem_id 1
		.amdhsa_next_free_vgpr 7
		.amdhsa_next_free_sgpr 16
		.amdhsa_reserve_vcc 1
		.amdhsa_reserve_flat_scratch 0
		.amdhsa_float_round_mode_32 0
		.amdhsa_float_round_mode_16_64 0
		.amdhsa_float_denorm_mode_32 3
		.amdhsa_float_denorm_mode_16_64 3
		.amdhsa_dx10_clamp 1
		.amdhsa_ieee_mode 1
		.amdhsa_fp16_overflow 0
		.amdhsa_exception_fp_ieee_invalid_op 0
		.amdhsa_exception_fp_denorm_src 0
		.amdhsa_exception_fp_ieee_div_zero 0
		.amdhsa_exception_fp_ieee_overflow 0
		.amdhsa_exception_fp_ieee_underflow 0
		.amdhsa_exception_fp_ieee_inexact 0
		.amdhsa_exception_int_div_zero 0
	.end_amdhsa_kernel
	.section	.text._ZL40rocblas_copy_triangular_syrk_herk_kernelILb1ELb0ELb1E19rocblas_complex_numIfEPS1_Li16ELi16EEviT3_ilPT2_i,"axG",@progbits,_ZL40rocblas_copy_triangular_syrk_herk_kernelILb1ELb0ELb1E19rocblas_complex_numIfEPS1_Li16ELi16EEviT3_ilPT2_i,comdat
.Lfunc_end33:
	.size	_ZL40rocblas_copy_triangular_syrk_herk_kernelILb1ELb0ELb1E19rocblas_complex_numIfEPS1_Li16ELi16EEviT3_ilPT2_i, .Lfunc_end33-_ZL40rocblas_copy_triangular_syrk_herk_kernelILb1ELb0ELb1E19rocblas_complex_numIfEPS1_Li16ELi16EEviT3_ilPT2_i
                                        ; -- End function
	.set _ZL40rocblas_copy_triangular_syrk_herk_kernelILb1ELb0ELb1E19rocblas_complex_numIfEPS1_Li16ELi16EEviT3_ilPT2_i.num_vgpr, 7
	.set _ZL40rocblas_copy_triangular_syrk_herk_kernelILb1ELb0ELb1E19rocblas_complex_numIfEPS1_Li16ELi16EEviT3_ilPT2_i.num_agpr, 0
	.set _ZL40rocblas_copy_triangular_syrk_herk_kernelILb1ELb0ELb1E19rocblas_complex_numIfEPS1_Li16ELi16EEviT3_ilPT2_i.numbered_sgpr, 16
	.set _ZL40rocblas_copy_triangular_syrk_herk_kernelILb1ELb0ELb1E19rocblas_complex_numIfEPS1_Li16ELi16EEviT3_ilPT2_i.num_named_barrier, 0
	.set _ZL40rocblas_copy_triangular_syrk_herk_kernelILb1ELb0ELb1E19rocblas_complex_numIfEPS1_Li16ELi16EEviT3_ilPT2_i.private_seg_size, 0
	.set _ZL40rocblas_copy_triangular_syrk_herk_kernelILb1ELb0ELb1E19rocblas_complex_numIfEPS1_Li16ELi16EEviT3_ilPT2_i.uses_vcc, 1
	.set _ZL40rocblas_copy_triangular_syrk_herk_kernelILb1ELb0ELb1E19rocblas_complex_numIfEPS1_Li16ELi16EEviT3_ilPT2_i.uses_flat_scratch, 0
	.set _ZL40rocblas_copy_triangular_syrk_herk_kernelILb1ELb0ELb1E19rocblas_complex_numIfEPS1_Li16ELi16EEviT3_ilPT2_i.has_dyn_sized_stack, 0
	.set _ZL40rocblas_copy_triangular_syrk_herk_kernelILb1ELb0ELb1E19rocblas_complex_numIfEPS1_Li16ELi16EEviT3_ilPT2_i.has_recursion, 0
	.set _ZL40rocblas_copy_triangular_syrk_herk_kernelILb1ELb0ELb1E19rocblas_complex_numIfEPS1_Li16ELi16EEviT3_ilPT2_i.has_indirect_call, 0
	.section	.AMDGPU.csdata,"",@progbits
; Kernel info:
; codeLenInByte = 324
; TotalNumSgprs: 20
; NumVgprs: 7
; ScratchSize: 0
; MemoryBound: 0
; FloatMode: 240
; IeeeMode: 1
; LDSByteSize: 0 bytes/workgroup (compile time only)
; SGPRBlocks: 2
; VGPRBlocks: 1
; NumSGPRsForWavesPerEU: 20
; NumVGPRsForWavesPerEU: 7
; Occupancy: 10
; WaveLimiterHint : 0
; COMPUTE_PGM_RSRC2:SCRATCH_EN: 0
; COMPUTE_PGM_RSRC2:USER_SGPR: 6
; COMPUTE_PGM_RSRC2:TRAP_HANDLER: 0
; COMPUTE_PGM_RSRC2:TGID_X_EN: 1
; COMPUTE_PGM_RSRC2:TGID_Y_EN: 1
; COMPUTE_PGM_RSRC2:TGID_Z_EN: 1
; COMPUTE_PGM_RSRC2:TIDIG_COMP_CNT: 1
	.section	.text._ZL40rocblas_copy_triangular_syrk_herk_kernelILb0ELb1ELb1E19rocblas_complex_numIfEPS1_Li16ELi16EEviT3_ilPT2_i,"axG",@progbits,_ZL40rocblas_copy_triangular_syrk_herk_kernelILb0ELb1ELb1E19rocblas_complex_numIfEPS1_Li16ELi16EEviT3_ilPT2_i,comdat
	.globl	_ZL40rocblas_copy_triangular_syrk_herk_kernelILb0ELb1ELb1E19rocblas_complex_numIfEPS1_Li16ELi16EEviT3_ilPT2_i ; -- Begin function _ZL40rocblas_copy_triangular_syrk_herk_kernelILb0ELb1ELb1E19rocblas_complex_numIfEPS1_Li16ELi16EEviT3_ilPT2_i
	.p2align	8
	.type	_ZL40rocblas_copy_triangular_syrk_herk_kernelILb0ELb1ELb1E19rocblas_complex_numIfEPS1_Li16ELi16EEviT3_ilPT2_i,@function
_ZL40rocblas_copy_triangular_syrk_herk_kernelILb0ELb1ELb1E19rocblas_complex_numIfEPS1_Li16ELi16EEviT3_ilPT2_i: ; @_ZL40rocblas_copy_triangular_syrk_herk_kernelILb0ELb1ELb1E19rocblas_complex_numIfEPS1_Li16ELi16EEviT3_ilPT2_i
; %bb.0:
	s_load_dwordx4 s[12:15], s[4:5], 0x18
	s_load_dword s10, s[4:5], 0x0
	s_load_dwordx2 s[0:1], s[4:5], 0x8
	s_load_dword s9, s[4:5], 0x10
	s_load_dword s11, s[4:5], 0x3c
	s_waitcnt lgkmcnt(0)
	s_mul_i32 s2, s13, s8
	s_mul_hi_u32 s3, s12, s8
	s_add_i32 s3, s3, s2
	s_mul_i32 s2, s12, s8
	s_lshl_b64 s[2:3], s[2:3], 3
	s_add_u32 s4, s0, s2
	s_addc_u32 s5, s1, s3
	s_lshr_b32 s0, s11, 16
	s_mul_i32 s7, s7, s0
	s_and_b32 s0, s11, 0xffff
	s_mul_i32 s6, s6, s0
	v_add_u32_e32 v1, s7, v1
	v_add_u32_e32 v0, s6, v0
	v_cmp_gt_i32_e32 vcc, s10, v1
	v_cmp_gt_i32_e64 s[0:1], s10, v0
	v_cmp_gt_i32_e64 s[2:3], v1, v0
	s_and_b64 s[0:1], s[0:1], vcc
	s_and_b64 s[0:1], s[0:1], s[2:3]
	v_ashrrev_i32_e32 v2, 31, v1
	s_and_saveexec_b64 s[2:3], s[0:1]
	s_cbranch_execz .LBB34_2
; %bb.1:
	v_add_u32_e32 v3, -1, v1
	s_add_i32 s0, s10, -1
	v_mul_lo_u32 v3, v3, v1
	s_mul_hi_i32 s1, s0, s10
	s_mul_i32 s0, s0, s10
	s_lshr_b32 s6, s1, 31
	s_add_u32 s0, s0, s6
	s_addc_u32 s1, s1, 0
	v_lshrrev_b32_e32 v4, 31, v3
	s_ashr_i64 s[0:1], s[0:1], 1
	v_add_u32_e32 v3, v3, v4
	s_mul_i32 s1, s1, s8
	s_mul_hi_u32 s6, s0, s8
	v_ashrrev_i32_e32 v3, 1, v3
	s_add_i32 s1, s6, s1
	s_mul_i32 s0, s0, s8
	v_add_u32_e32 v3, v3, v0
	s_lshl_b64 s[0:1], s[0:1], 3
	v_ashrrev_i32_e32 v4, 31, v3
	s_add_u32 s0, s14, s0
	v_lshlrev_b64 v[3:4], 3, v[3:4]
	s_addc_u32 s1, s15, s1
	v_mov_b32_e32 v5, s1
	v_add_co_u32_e64 v3, s[0:1], s0, v3
	v_addc_co_u32_e64 v4, s[0:1], v5, v4, s[0:1]
	global_load_dwordx2 v[3:4], v[3:4], off
	v_mad_i64_i32 v[5:6], s[0:1], v0, s9, 0
	v_mov_b32_e32 v7, s5
	v_lshlrev_b64 v[5:6], 3, v[5:6]
	v_add_co_u32_e64 v8, s[0:1], s4, v5
	v_addc_co_u32_e64 v7, s[0:1], v7, v6, s[0:1]
	v_lshlrev_b64 v[5:6], 3, v[1:2]
	v_add_co_u32_e64 v5, s[0:1], v8, v5
	v_addc_co_u32_e64 v6, s[0:1], v7, v6, s[0:1]
	s_waitcnt vmcnt(0)
	global_store_dwordx2 v[5:6], v[3:4], off
.LBB34_2:
	s_or_b64 exec, exec, s[2:3]
	v_cmp_eq_u32_e64 s[0:1], v1, v0
	s_and_b64 s[0:1], vcc, s[0:1]
	s_and_saveexec_b64 s[2:3], s[0:1]
	s_cbranch_execz .LBB34_4
; %bb.3:
	v_mad_i64_i32 v[0:1], s[0:1], v1, s9, v[1:2]
	v_mov_b32_e32 v2, s5
	v_lshlrev_b64 v[0:1], 3, v[0:1]
	v_add_co_u32_e32 v0, vcc, s4, v0
	v_addc_co_u32_e32 v1, vcc, v2, v1, vcc
	v_mov_b32_e32 v2, 0
	global_store_dword v[0:1], v2, off offset:4
.LBB34_4:
	s_endpgm
	.section	.rodata,"a",@progbits
	.p2align	6, 0x0
	.amdhsa_kernel _ZL40rocblas_copy_triangular_syrk_herk_kernelILb0ELb1ELb1E19rocblas_complex_numIfEPS1_Li16ELi16EEviT3_ilPT2_i
		.amdhsa_group_segment_fixed_size 0
		.amdhsa_private_segment_fixed_size 0
		.amdhsa_kernarg_size 304
		.amdhsa_user_sgpr_count 6
		.amdhsa_user_sgpr_private_segment_buffer 1
		.amdhsa_user_sgpr_dispatch_ptr 0
		.amdhsa_user_sgpr_queue_ptr 0
		.amdhsa_user_sgpr_kernarg_segment_ptr 1
		.amdhsa_user_sgpr_dispatch_id 0
		.amdhsa_user_sgpr_flat_scratch_init 0
		.amdhsa_user_sgpr_private_segment_size 0
		.amdhsa_uses_dynamic_stack 0
		.amdhsa_system_sgpr_private_segment_wavefront_offset 0
		.amdhsa_system_sgpr_workgroup_id_x 1
		.amdhsa_system_sgpr_workgroup_id_y 1
		.amdhsa_system_sgpr_workgroup_id_z 1
		.amdhsa_system_sgpr_workgroup_info 0
		.amdhsa_system_vgpr_workitem_id 1
		.amdhsa_next_free_vgpr 9
		.amdhsa_next_free_sgpr 16
		.amdhsa_reserve_vcc 1
		.amdhsa_reserve_flat_scratch 0
		.amdhsa_float_round_mode_32 0
		.amdhsa_float_round_mode_16_64 0
		.amdhsa_float_denorm_mode_32 3
		.amdhsa_float_denorm_mode_16_64 3
		.amdhsa_dx10_clamp 1
		.amdhsa_ieee_mode 1
		.amdhsa_fp16_overflow 0
		.amdhsa_exception_fp_ieee_invalid_op 0
		.amdhsa_exception_fp_denorm_src 0
		.amdhsa_exception_fp_ieee_div_zero 0
		.amdhsa_exception_fp_ieee_overflow 0
		.amdhsa_exception_fp_ieee_underflow 0
		.amdhsa_exception_fp_ieee_inexact 0
		.amdhsa_exception_int_div_zero 0
	.end_amdhsa_kernel
	.section	.text._ZL40rocblas_copy_triangular_syrk_herk_kernelILb0ELb1ELb1E19rocblas_complex_numIfEPS1_Li16ELi16EEviT3_ilPT2_i,"axG",@progbits,_ZL40rocblas_copy_triangular_syrk_herk_kernelILb0ELb1ELb1E19rocblas_complex_numIfEPS1_Li16ELi16EEviT3_ilPT2_i,comdat
.Lfunc_end34:
	.size	_ZL40rocblas_copy_triangular_syrk_herk_kernelILb0ELb1ELb1E19rocblas_complex_numIfEPS1_Li16ELi16EEviT3_ilPT2_i, .Lfunc_end34-_ZL40rocblas_copy_triangular_syrk_herk_kernelILb0ELb1ELb1E19rocblas_complex_numIfEPS1_Li16ELi16EEviT3_ilPT2_i
                                        ; -- End function
	.set _ZL40rocblas_copy_triangular_syrk_herk_kernelILb0ELb1ELb1E19rocblas_complex_numIfEPS1_Li16ELi16EEviT3_ilPT2_i.num_vgpr, 9
	.set _ZL40rocblas_copy_triangular_syrk_herk_kernelILb0ELb1ELb1E19rocblas_complex_numIfEPS1_Li16ELi16EEviT3_ilPT2_i.num_agpr, 0
	.set _ZL40rocblas_copy_triangular_syrk_herk_kernelILb0ELb1ELb1E19rocblas_complex_numIfEPS1_Li16ELi16EEviT3_ilPT2_i.numbered_sgpr, 16
	.set _ZL40rocblas_copy_triangular_syrk_herk_kernelILb0ELb1ELb1E19rocblas_complex_numIfEPS1_Li16ELi16EEviT3_ilPT2_i.num_named_barrier, 0
	.set _ZL40rocblas_copy_triangular_syrk_herk_kernelILb0ELb1ELb1E19rocblas_complex_numIfEPS1_Li16ELi16EEviT3_ilPT2_i.private_seg_size, 0
	.set _ZL40rocblas_copy_triangular_syrk_herk_kernelILb0ELb1ELb1E19rocblas_complex_numIfEPS1_Li16ELi16EEviT3_ilPT2_i.uses_vcc, 1
	.set _ZL40rocblas_copy_triangular_syrk_herk_kernelILb0ELb1ELb1E19rocblas_complex_numIfEPS1_Li16ELi16EEviT3_ilPT2_i.uses_flat_scratch, 0
	.set _ZL40rocblas_copy_triangular_syrk_herk_kernelILb0ELb1ELb1E19rocblas_complex_numIfEPS1_Li16ELi16EEviT3_ilPT2_i.has_dyn_sized_stack, 0
	.set _ZL40rocblas_copy_triangular_syrk_herk_kernelILb0ELb1ELb1E19rocblas_complex_numIfEPS1_Li16ELi16EEviT3_ilPT2_i.has_recursion, 0
	.set _ZL40rocblas_copy_triangular_syrk_herk_kernelILb0ELb1ELb1E19rocblas_complex_numIfEPS1_Li16ELi16EEviT3_ilPT2_i.has_indirect_call, 0
	.section	.AMDGPU.csdata,"",@progbits
; Kernel info:
; codeLenInByte = 404
; TotalNumSgprs: 20
; NumVgprs: 9
; ScratchSize: 0
; MemoryBound: 0
; FloatMode: 240
; IeeeMode: 1
; LDSByteSize: 0 bytes/workgroup (compile time only)
; SGPRBlocks: 2
; VGPRBlocks: 2
; NumSGPRsForWavesPerEU: 20
; NumVGPRsForWavesPerEU: 9
; Occupancy: 10
; WaveLimiterHint : 0
; COMPUTE_PGM_RSRC2:SCRATCH_EN: 0
; COMPUTE_PGM_RSRC2:USER_SGPR: 6
; COMPUTE_PGM_RSRC2:TRAP_HANDLER: 0
; COMPUTE_PGM_RSRC2:TGID_X_EN: 1
; COMPUTE_PGM_RSRC2:TGID_Y_EN: 1
; COMPUTE_PGM_RSRC2:TGID_Z_EN: 1
; COMPUTE_PGM_RSRC2:TIDIG_COMP_CNT: 1
	.section	.text._ZL40rocblas_copy_triangular_syrk_herk_kernelILb0ELb0ELb1E19rocblas_complex_numIfEPS1_Li16ELi16EEviT3_ilPT2_i,"axG",@progbits,_ZL40rocblas_copy_triangular_syrk_herk_kernelILb0ELb0ELb1E19rocblas_complex_numIfEPS1_Li16ELi16EEviT3_ilPT2_i,comdat
	.globl	_ZL40rocblas_copy_triangular_syrk_herk_kernelILb0ELb0ELb1E19rocblas_complex_numIfEPS1_Li16ELi16EEviT3_ilPT2_i ; -- Begin function _ZL40rocblas_copy_triangular_syrk_herk_kernelILb0ELb0ELb1E19rocblas_complex_numIfEPS1_Li16ELi16EEviT3_ilPT2_i
	.p2align	8
	.type	_ZL40rocblas_copy_triangular_syrk_herk_kernelILb0ELb0ELb1E19rocblas_complex_numIfEPS1_Li16ELi16EEviT3_ilPT2_i,@function
_ZL40rocblas_copy_triangular_syrk_herk_kernelILb0ELb0ELb1E19rocblas_complex_numIfEPS1_Li16ELi16EEviT3_ilPT2_i: ; @_ZL40rocblas_copy_triangular_syrk_herk_kernelILb0ELb0ELb1E19rocblas_complex_numIfEPS1_Li16ELi16EEviT3_ilPT2_i
; %bb.0:
	s_load_dwordx4 s[0:3], s[4:5], 0x18
	s_load_dword s10, s[4:5], 0x0
	s_load_dwordx2 s[12:13], s[4:5], 0x8
	s_load_dword s9, s[4:5], 0x10
	s_load_dword s11, s[4:5], 0x3c
	s_waitcnt lgkmcnt(0)
	s_mul_i32 s1, s1, s8
	s_mul_hi_u32 s4, s0, s8
	s_add_i32 s1, s4, s1
	s_mul_i32 s0, s0, s8
	s_lshl_b64 s[0:1], s[0:1], 3
	s_add_u32 s4, s12, s0
	s_addc_u32 s5, s13, s1
	s_lshr_b32 s0, s11, 16
	s_mul_i32 s7, s7, s0
	s_and_b32 s0, s11, 0xffff
	s_mul_i32 s6, s6, s0
	v_add_u32_e32 v1, s7, v1
	v_add_u32_e32 v0, s6, v0
	v_cmp_gt_i32_e32 vcc, s10, v0
	v_cmp_lt_i32_e64 s[0:1], v1, v0
	s_and_b64 s[6:7], vcc, s[0:1]
	v_ashrrev_i32_e32 v2, 31, v1
	s_and_saveexec_b64 s[0:1], s[6:7]
	s_cbranch_execz .LBB35_2
; %bb.1:
	v_not_b32_e32 v3, v1
	v_lshl_add_u32 v4, s10, 1, v3
	s_add_i32 s6, s10, -1
	v_mul_lo_u32 v4, v4, v1
	s_mul_hi_i32 s7, s6, s10
	s_mul_i32 s6, s6, s10
	s_lshr_b32 s11, s7, 31
	s_add_u32 s6, s6, s11
	s_addc_u32 s7, s7, 0
	v_lshrrev_b32_e32 v5, 31, v4
	s_ashr_i64 s[6:7], s[6:7], 1
	v_add_u32_e32 v4, v4, v5
	s_mul_i32 s7, s7, s8
	s_mul_hi_u32 s11, s6, s8
	v_ashrrev_i32_e32 v4, 1, v4
	s_add_i32 s7, s11, s7
	s_mul_i32 s6, s6, s8
	v_add3_u32 v3, v0, v3, v4
	s_lshl_b64 s[6:7], s[6:7], 3
	v_ashrrev_i32_e32 v4, 31, v3
	s_add_u32 s2, s2, s6
	v_lshlrev_b64 v[3:4], 3, v[3:4]
	s_addc_u32 s3, s3, s7
	v_mov_b32_e32 v5, s3
	v_add_co_u32_e32 v3, vcc, s2, v3
	v_addc_co_u32_e32 v4, vcc, v5, v4, vcc
	global_load_dwordx2 v[3:4], v[3:4], off
	v_mad_i64_i32 v[5:6], s[2:3], v0, s9, 0
	v_mov_b32_e32 v7, s5
	v_lshlrev_b64 v[5:6], 3, v[5:6]
	v_add_co_u32_e32 v8, vcc, s4, v5
	v_addc_co_u32_e32 v7, vcc, v7, v6, vcc
	v_lshlrev_b64 v[5:6], 3, v[1:2]
	v_add_co_u32_e32 v5, vcc, v8, v5
	v_addc_co_u32_e32 v6, vcc, v7, v6, vcc
	s_waitcnt vmcnt(0)
	global_store_dwordx2 v[5:6], v[3:4], off
.LBB35_2:
	s_or_b64 exec, exec, s[0:1]
	v_cmp_gt_i32_e32 vcc, s10, v1
	v_cmp_eq_u32_e64 s[0:1], v1, v0
	s_and_b64 s[0:1], vcc, s[0:1]
	s_and_saveexec_b64 s[2:3], s[0:1]
	s_cbranch_execz .LBB35_4
; %bb.3:
	v_mad_i64_i32 v[0:1], s[0:1], v1, s9, v[1:2]
	v_mov_b32_e32 v2, s5
	v_lshlrev_b64 v[0:1], 3, v[0:1]
	v_add_co_u32_e32 v0, vcc, s4, v0
	v_addc_co_u32_e32 v1, vcc, v2, v1, vcc
	v_mov_b32_e32 v2, 0
	global_store_dword v[0:1], v2, off offset:4
.LBB35_4:
	s_endpgm
	.section	.rodata,"a",@progbits
	.p2align	6, 0x0
	.amdhsa_kernel _ZL40rocblas_copy_triangular_syrk_herk_kernelILb0ELb0ELb1E19rocblas_complex_numIfEPS1_Li16ELi16EEviT3_ilPT2_i
		.amdhsa_group_segment_fixed_size 0
		.amdhsa_private_segment_fixed_size 0
		.amdhsa_kernarg_size 304
		.amdhsa_user_sgpr_count 6
		.amdhsa_user_sgpr_private_segment_buffer 1
		.amdhsa_user_sgpr_dispatch_ptr 0
		.amdhsa_user_sgpr_queue_ptr 0
		.amdhsa_user_sgpr_kernarg_segment_ptr 1
		.amdhsa_user_sgpr_dispatch_id 0
		.amdhsa_user_sgpr_flat_scratch_init 0
		.amdhsa_user_sgpr_private_segment_size 0
		.amdhsa_uses_dynamic_stack 0
		.amdhsa_system_sgpr_private_segment_wavefront_offset 0
		.amdhsa_system_sgpr_workgroup_id_x 1
		.amdhsa_system_sgpr_workgroup_id_y 1
		.amdhsa_system_sgpr_workgroup_id_z 1
		.amdhsa_system_sgpr_workgroup_info 0
		.amdhsa_system_vgpr_workitem_id 1
		.amdhsa_next_free_vgpr 9
		.amdhsa_next_free_sgpr 14
		.amdhsa_reserve_vcc 1
		.amdhsa_reserve_flat_scratch 0
		.amdhsa_float_round_mode_32 0
		.amdhsa_float_round_mode_16_64 0
		.amdhsa_float_denorm_mode_32 3
		.amdhsa_float_denorm_mode_16_64 3
		.amdhsa_dx10_clamp 1
		.amdhsa_ieee_mode 1
		.amdhsa_fp16_overflow 0
		.amdhsa_exception_fp_ieee_invalid_op 0
		.amdhsa_exception_fp_denorm_src 0
		.amdhsa_exception_fp_ieee_div_zero 0
		.amdhsa_exception_fp_ieee_overflow 0
		.amdhsa_exception_fp_ieee_underflow 0
		.amdhsa_exception_fp_ieee_inexact 0
		.amdhsa_exception_int_div_zero 0
	.end_amdhsa_kernel
	.section	.text._ZL40rocblas_copy_triangular_syrk_herk_kernelILb0ELb0ELb1E19rocblas_complex_numIfEPS1_Li16ELi16EEviT3_ilPT2_i,"axG",@progbits,_ZL40rocblas_copy_triangular_syrk_herk_kernelILb0ELb0ELb1E19rocblas_complex_numIfEPS1_Li16ELi16EEviT3_ilPT2_i,comdat
.Lfunc_end35:
	.size	_ZL40rocblas_copy_triangular_syrk_herk_kernelILb0ELb0ELb1E19rocblas_complex_numIfEPS1_Li16ELi16EEviT3_ilPT2_i, .Lfunc_end35-_ZL40rocblas_copy_triangular_syrk_herk_kernelILb0ELb0ELb1E19rocblas_complex_numIfEPS1_Li16ELi16EEviT3_ilPT2_i
                                        ; -- End function
	.set _ZL40rocblas_copy_triangular_syrk_herk_kernelILb0ELb0ELb1E19rocblas_complex_numIfEPS1_Li16ELi16EEviT3_ilPT2_i.num_vgpr, 9
	.set _ZL40rocblas_copy_triangular_syrk_herk_kernelILb0ELb0ELb1E19rocblas_complex_numIfEPS1_Li16ELi16EEviT3_ilPT2_i.num_agpr, 0
	.set _ZL40rocblas_copy_triangular_syrk_herk_kernelILb0ELb0ELb1E19rocblas_complex_numIfEPS1_Li16ELi16EEviT3_ilPT2_i.numbered_sgpr, 14
	.set _ZL40rocblas_copy_triangular_syrk_herk_kernelILb0ELb0ELb1E19rocblas_complex_numIfEPS1_Li16ELi16EEviT3_ilPT2_i.num_named_barrier, 0
	.set _ZL40rocblas_copy_triangular_syrk_herk_kernelILb0ELb0ELb1E19rocblas_complex_numIfEPS1_Li16ELi16EEviT3_ilPT2_i.private_seg_size, 0
	.set _ZL40rocblas_copy_triangular_syrk_herk_kernelILb0ELb0ELb1E19rocblas_complex_numIfEPS1_Li16ELi16EEviT3_ilPT2_i.uses_vcc, 1
	.set _ZL40rocblas_copy_triangular_syrk_herk_kernelILb0ELb0ELb1E19rocblas_complex_numIfEPS1_Li16ELi16EEviT3_ilPT2_i.uses_flat_scratch, 0
	.set _ZL40rocblas_copy_triangular_syrk_herk_kernelILb0ELb0ELb1E19rocblas_complex_numIfEPS1_Li16ELi16EEviT3_ilPT2_i.has_dyn_sized_stack, 0
	.set _ZL40rocblas_copy_triangular_syrk_herk_kernelILb0ELb0ELb1E19rocblas_complex_numIfEPS1_Li16ELi16EEviT3_ilPT2_i.has_recursion, 0
	.set _ZL40rocblas_copy_triangular_syrk_herk_kernelILb0ELb0ELb1E19rocblas_complex_numIfEPS1_Li16ELi16EEviT3_ilPT2_i.has_indirect_call, 0
	.section	.AMDGPU.csdata,"",@progbits
; Kernel info:
; codeLenInByte = 384
; TotalNumSgprs: 18
; NumVgprs: 9
; ScratchSize: 0
; MemoryBound: 0
; FloatMode: 240
; IeeeMode: 1
; LDSByteSize: 0 bytes/workgroup (compile time only)
; SGPRBlocks: 2
; VGPRBlocks: 2
; NumSGPRsForWavesPerEU: 18
; NumVGPRsForWavesPerEU: 9
; Occupancy: 10
; WaveLimiterHint : 0
; COMPUTE_PGM_RSRC2:SCRATCH_EN: 0
; COMPUTE_PGM_RSRC2:USER_SGPR: 6
; COMPUTE_PGM_RSRC2:TRAP_HANDLER: 0
; COMPUTE_PGM_RSRC2:TGID_X_EN: 1
; COMPUTE_PGM_RSRC2:TGID_Y_EN: 1
; COMPUTE_PGM_RSRC2:TGID_Z_EN: 1
; COMPUTE_PGM_RSRC2:TIDIG_COMP_CNT: 1
	.section	.text._ZL40rocblas_copy_triangular_syrk_herk_kernelILb1ELb1ELb1E19rocblas_complex_numIdEPS1_Li16ELi16EEviT3_ilPT2_i,"axG",@progbits,_ZL40rocblas_copy_triangular_syrk_herk_kernelILb1ELb1ELb1E19rocblas_complex_numIdEPS1_Li16ELi16EEviT3_ilPT2_i,comdat
	.globl	_ZL40rocblas_copy_triangular_syrk_herk_kernelILb1ELb1ELb1E19rocblas_complex_numIdEPS1_Li16ELi16EEviT3_ilPT2_i ; -- Begin function _ZL40rocblas_copy_triangular_syrk_herk_kernelILb1ELb1ELb1E19rocblas_complex_numIdEPS1_Li16ELi16EEviT3_ilPT2_i
	.p2align	8
	.type	_ZL40rocblas_copy_triangular_syrk_herk_kernelILb1ELb1ELb1E19rocblas_complex_numIdEPS1_Li16ELi16EEviT3_ilPT2_i,@function
_ZL40rocblas_copy_triangular_syrk_herk_kernelILb1ELb1ELb1E19rocblas_complex_numIdEPS1_Li16ELi16EEviT3_ilPT2_i: ; @_ZL40rocblas_copy_triangular_syrk_herk_kernelILb1ELb1ELb1E19rocblas_complex_numIdEPS1_Li16ELi16EEviT3_ilPT2_i
; %bb.0:
	s_load_dword s0, s[4:5], 0x3c
	s_load_dword s2, s[4:5], 0x0
	s_waitcnt lgkmcnt(0)
	s_lshr_b32 s1, s0, 16
	s_and_b32 s0, s0, 0xffff
	s_mul_i32 s7, s7, s1
	s_mul_i32 s6, s6, s0
	v_add_u32_e32 v1, s7, v1
	v_add_u32_e32 v0, s6, v0
	v_max_i32_e32 v2, v1, v0
	v_cmp_gt_i32_e32 vcc, s2, v2
	v_cmp_gt_i32_e64 s[0:1], v1, v0
	s_and_b64 s[0:1], s[0:1], vcc
	s_and_saveexec_b64 s[6:7], s[0:1]
	s_cbranch_execz .LBB36_2
; %bb.1:
	s_add_i32 s3, s2, -1
	s_load_dwordx2 s[0:1], s[4:5], 0x8
	s_load_dword s6, s[4:5], 0x10
	s_load_dwordx4 s[12:15], s[4:5], 0x18
	s_mul_hi_i32 s4, s3, s2
	s_mul_i32 s3, s3, s2
	s_lshr_b32 s2, s4, 31
	s_add_u32 s2, s3, s2
	s_addc_u32 s3, s4, 0
	s_ashr_i64 s[2:3], s[2:3], 1
	s_mul_i32 s3, s3, s8
	s_mul_hi_u32 s4, s2, s8
	s_add_i32 s3, s4, s3
	s_mul_i32 s2, s2, s8
	s_lshl_b64 s[2:3], s[2:3], 4
	s_waitcnt lgkmcnt(0)
	s_add_u32 s7, s14, s2
	v_mad_i64_i32 v[3:4], s[4:5], v0, s6, 0
	s_addc_u32 s9, s15, s3
	s_mul_i32 s2, s13, s8
	s_mul_hi_u32 s3, s12, s8
	s_add_i32 s3, s3, s2
	s_mul_i32 s2, s12, s8
	s_lshl_b64 s[2:3], s[2:3], 4
	s_add_u32 s0, s0, s2
	v_lshlrev_b64 v[3:4], 4, v[3:4]
	s_addc_u32 s1, s1, s3
	v_ashrrev_i32_e32 v2, 31, v1
	v_mov_b32_e32 v5, s1
	v_add_co_u32_e32 v6, vcc, s0, v3
	v_lshlrev_b64 v[2:3], 4, v[1:2]
	v_addc_co_u32_e32 v4, vcc, v5, v4, vcc
	v_add_co_u32_e32 v2, vcc, v6, v2
	v_addc_co_u32_e32 v3, vcc, v4, v3, vcc
	global_load_dwordx4 v[2:5], v[2:3], off
	v_add_u32_e32 v6, -1, v1
	v_mul_lo_u32 v1, v6, v1
	v_lshrrev_b32_e32 v6, 31, v1
	v_add_u32_e32 v1, v1, v6
	v_ashrrev_i32_e32 v1, 1, v1
	v_add_u32_e32 v0, v1, v0
	v_ashrrev_i32_e32 v1, 31, v0
	v_lshlrev_b64 v[0:1], 4, v[0:1]
	v_mov_b32_e32 v6, s9
	v_add_co_u32_e32 v0, vcc, s7, v0
	v_addc_co_u32_e32 v1, vcc, v6, v1, vcc
	s_waitcnt vmcnt(0)
	global_store_dwordx4 v[0:1], v[2:5], off
.LBB36_2:
	s_endpgm
	.section	.rodata,"a",@progbits
	.p2align	6, 0x0
	.amdhsa_kernel _ZL40rocblas_copy_triangular_syrk_herk_kernelILb1ELb1ELb1E19rocblas_complex_numIdEPS1_Li16ELi16EEviT3_ilPT2_i
		.amdhsa_group_segment_fixed_size 0
		.amdhsa_private_segment_fixed_size 0
		.amdhsa_kernarg_size 304
		.amdhsa_user_sgpr_count 6
		.amdhsa_user_sgpr_private_segment_buffer 1
		.amdhsa_user_sgpr_dispatch_ptr 0
		.amdhsa_user_sgpr_queue_ptr 0
		.amdhsa_user_sgpr_kernarg_segment_ptr 1
		.amdhsa_user_sgpr_dispatch_id 0
		.amdhsa_user_sgpr_flat_scratch_init 0
		.amdhsa_user_sgpr_private_segment_size 0
		.amdhsa_uses_dynamic_stack 0
		.amdhsa_system_sgpr_private_segment_wavefront_offset 0
		.amdhsa_system_sgpr_workgroup_id_x 1
		.amdhsa_system_sgpr_workgroup_id_y 1
		.amdhsa_system_sgpr_workgroup_id_z 1
		.amdhsa_system_sgpr_workgroup_info 0
		.amdhsa_system_vgpr_workitem_id 1
		.amdhsa_next_free_vgpr 7
		.amdhsa_next_free_sgpr 16
		.amdhsa_reserve_vcc 1
		.amdhsa_reserve_flat_scratch 0
		.amdhsa_float_round_mode_32 0
		.amdhsa_float_round_mode_16_64 0
		.amdhsa_float_denorm_mode_32 3
		.amdhsa_float_denorm_mode_16_64 3
		.amdhsa_dx10_clamp 1
		.amdhsa_ieee_mode 1
		.amdhsa_fp16_overflow 0
		.amdhsa_exception_fp_ieee_invalid_op 0
		.amdhsa_exception_fp_denorm_src 0
		.amdhsa_exception_fp_ieee_div_zero 0
		.amdhsa_exception_fp_ieee_overflow 0
		.amdhsa_exception_fp_ieee_underflow 0
		.amdhsa_exception_fp_ieee_inexact 0
		.amdhsa_exception_int_div_zero 0
	.end_amdhsa_kernel
	.section	.text._ZL40rocblas_copy_triangular_syrk_herk_kernelILb1ELb1ELb1E19rocblas_complex_numIdEPS1_Li16ELi16EEviT3_ilPT2_i,"axG",@progbits,_ZL40rocblas_copy_triangular_syrk_herk_kernelILb1ELb1ELb1E19rocblas_complex_numIdEPS1_Li16ELi16EEviT3_ilPT2_i,comdat
.Lfunc_end36:
	.size	_ZL40rocblas_copy_triangular_syrk_herk_kernelILb1ELb1ELb1E19rocblas_complex_numIdEPS1_Li16ELi16EEviT3_ilPT2_i, .Lfunc_end36-_ZL40rocblas_copy_triangular_syrk_herk_kernelILb1ELb1ELb1E19rocblas_complex_numIdEPS1_Li16ELi16EEviT3_ilPT2_i
                                        ; -- End function
	.set _ZL40rocblas_copy_triangular_syrk_herk_kernelILb1ELb1ELb1E19rocblas_complex_numIdEPS1_Li16ELi16EEviT3_ilPT2_i.num_vgpr, 7
	.set _ZL40rocblas_copy_triangular_syrk_herk_kernelILb1ELb1ELb1E19rocblas_complex_numIdEPS1_Li16ELi16EEviT3_ilPT2_i.num_agpr, 0
	.set _ZL40rocblas_copy_triangular_syrk_herk_kernelILb1ELb1ELb1E19rocblas_complex_numIdEPS1_Li16ELi16EEviT3_ilPT2_i.numbered_sgpr, 16
	.set _ZL40rocblas_copy_triangular_syrk_herk_kernelILb1ELb1ELb1E19rocblas_complex_numIdEPS1_Li16ELi16EEviT3_ilPT2_i.num_named_barrier, 0
	.set _ZL40rocblas_copy_triangular_syrk_herk_kernelILb1ELb1ELb1E19rocblas_complex_numIdEPS1_Li16ELi16EEviT3_ilPT2_i.private_seg_size, 0
	.set _ZL40rocblas_copy_triangular_syrk_herk_kernelILb1ELb1ELb1E19rocblas_complex_numIdEPS1_Li16ELi16EEviT3_ilPT2_i.uses_vcc, 1
	.set _ZL40rocblas_copy_triangular_syrk_herk_kernelILb1ELb1ELb1E19rocblas_complex_numIdEPS1_Li16ELi16EEviT3_ilPT2_i.uses_flat_scratch, 0
	.set _ZL40rocblas_copy_triangular_syrk_herk_kernelILb1ELb1ELb1E19rocblas_complex_numIdEPS1_Li16ELi16EEviT3_ilPT2_i.has_dyn_sized_stack, 0
	.set _ZL40rocblas_copy_triangular_syrk_herk_kernelILb1ELb1ELb1E19rocblas_complex_numIdEPS1_Li16ELi16EEviT3_ilPT2_i.has_recursion, 0
	.set _ZL40rocblas_copy_triangular_syrk_herk_kernelILb1ELb1ELb1E19rocblas_complex_numIdEPS1_Li16ELi16EEviT3_ilPT2_i.has_indirect_call, 0
	.section	.AMDGPU.csdata,"",@progbits
; Kernel info:
; codeLenInByte = 312
; TotalNumSgprs: 20
; NumVgprs: 7
; ScratchSize: 0
; MemoryBound: 0
; FloatMode: 240
; IeeeMode: 1
; LDSByteSize: 0 bytes/workgroup (compile time only)
; SGPRBlocks: 2
; VGPRBlocks: 1
; NumSGPRsForWavesPerEU: 20
; NumVGPRsForWavesPerEU: 7
; Occupancy: 10
; WaveLimiterHint : 0
; COMPUTE_PGM_RSRC2:SCRATCH_EN: 0
; COMPUTE_PGM_RSRC2:USER_SGPR: 6
; COMPUTE_PGM_RSRC2:TRAP_HANDLER: 0
; COMPUTE_PGM_RSRC2:TGID_X_EN: 1
; COMPUTE_PGM_RSRC2:TGID_Y_EN: 1
; COMPUTE_PGM_RSRC2:TGID_Z_EN: 1
; COMPUTE_PGM_RSRC2:TIDIG_COMP_CNT: 1
	.section	.text._ZL40rocblas_copy_triangular_syrk_herk_kernelILb1ELb0ELb1E19rocblas_complex_numIdEPS1_Li16ELi16EEviT3_ilPT2_i,"axG",@progbits,_ZL40rocblas_copy_triangular_syrk_herk_kernelILb1ELb0ELb1E19rocblas_complex_numIdEPS1_Li16ELi16EEviT3_ilPT2_i,comdat
	.globl	_ZL40rocblas_copy_triangular_syrk_herk_kernelILb1ELb0ELb1E19rocblas_complex_numIdEPS1_Li16ELi16EEviT3_ilPT2_i ; -- Begin function _ZL40rocblas_copy_triangular_syrk_herk_kernelILb1ELb0ELb1E19rocblas_complex_numIdEPS1_Li16ELi16EEviT3_ilPT2_i
	.p2align	8
	.type	_ZL40rocblas_copy_triangular_syrk_herk_kernelILb1ELb0ELb1E19rocblas_complex_numIdEPS1_Li16ELi16EEviT3_ilPT2_i,@function
_ZL40rocblas_copy_triangular_syrk_herk_kernelILb1ELb0ELb1E19rocblas_complex_numIdEPS1_Li16ELi16EEviT3_ilPT2_i: ; @_ZL40rocblas_copy_triangular_syrk_herk_kernelILb1ELb0ELb1E19rocblas_complex_numIdEPS1_Li16ELi16EEviT3_ilPT2_i
; %bb.0:
	s_load_dword s0, s[4:5], 0x3c
	s_load_dword s2, s[4:5], 0x0
	s_waitcnt lgkmcnt(0)
	s_lshr_b32 s1, s0, 16
	s_and_b32 s0, s0, 0xffff
	s_mul_i32 s7, s7, s1
	s_mul_i32 s6, s6, s0
	v_add_u32_e32 v1, s7, v1
	v_add_u32_e32 v0, s6, v0
	v_max_i32_e32 v2, v1, v0
	v_cmp_gt_i32_e32 vcc, s2, v2
	v_cmp_lt_i32_e64 s[0:1], v1, v0
	s_and_b64 s[0:1], s[0:1], vcc
	s_and_saveexec_b64 s[6:7], s[0:1]
	s_cbranch_execz .LBB37_2
; %bb.1:
	s_load_dwordx2 s[0:1], s[4:5], 0x8
	s_load_dword s3, s[4:5], 0x10
	s_load_dwordx4 s[12:15], s[4:5], 0x18
	s_add_i32 s4, s2, -1
	s_mul_hi_i32 s5, s4, s2
	s_mul_i32 s4, s4, s2
	s_lshr_b32 s6, s5, 31
	s_add_u32 s4, s4, s6
	s_addc_u32 s5, s5, 0
	s_ashr_i64 s[4:5], s[4:5], 1
	s_mul_i32 s5, s5, s8
	s_mul_hi_u32 s6, s4, s8
	s_add_i32 s5, s6, s5
	s_mul_i32 s4, s4, s8
	s_lshl_b64 s[4:5], s[4:5], 4
	s_waitcnt lgkmcnt(0)
	s_add_u32 s9, s14, s4
	v_mad_i64_i32 v[3:4], s[6:7], v0, s3, 0
	s_addc_u32 s10, s15, s5
	s_mul_i32 s4, s13, s8
	s_mul_hi_u32 s5, s12, s8
	s_add_i32 s5, s5, s4
	s_mul_i32 s4, s12, s8
	s_lshl_b64 s[4:5], s[4:5], 4
	s_add_u32 s0, s0, s4
	v_lshlrev_b64 v[3:4], 4, v[3:4]
	s_addc_u32 s1, s1, s5
	v_ashrrev_i32_e32 v2, 31, v1
	v_mov_b32_e32 v5, s1
	v_add_co_u32_e32 v6, vcc, s0, v3
	v_lshlrev_b64 v[2:3], 4, v[1:2]
	v_addc_co_u32_e32 v4, vcc, v5, v4, vcc
	v_add_co_u32_e32 v2, vcc, v6, v2
	v_addc_co_u32_e32 v3, vcc, v4, v3, vcc
	global_load_dwordx4 v[2:5], v[2:3], off
	v_not_b32_e32 v6, v1
	v_lshl_add_u32 v7, s2, 1, v6
	v_mul_lo_u32 v1, v7, v1
	v_lshrrev_b32_e32 v7, 31, v1
	v_add_u32_e32 v1, v1, v7
	v_ashrrev_i32_e32 v1, 1, v1
	v_add3_u32 v0, v0, v6, v1
	v_ashrrev_i32_e32 v1, 31, v0
	v_lshlrev_b64 v[0:1], 4, v[0:1]
	v_mov_b32_e32 v6, s10
	v_add_co_u32_e32 v0, vcc, s9, v0
	v_addc_co_u32_e32 v1, vcc, v6, v1, vcc
	s_waitcnt vmcnt(0)
	global_store_dwordx4 v[0:1], v[2:5], off
.LBB37_2:
	s_endpgm
	.section	.rodata,"a",@progbits
	.p2align	6, 0x0
	.amdhsa_kernel _ZL40rocblas_copy_triangular_syrk_herk_kernelILb1ELb0ELb1E19rocblas_complex_numIdEPS1_Li16ELi16EEviT3_ilPT2_i
		.amdhsa_group_segment_fixed_size 0
		.amdhsa_private_segment_fixed_size 0
		.amdhsa_kernarg_size 304
		.amdhsa_user_sgpr_count 6
		.amdhsa_user_sgpr_private_segment_buffer 1
		.amdhsa_user_sgpr_dispatch_ptr 0
		.amdhsa_user_sgpr_queue_ptr 0
		.amdhsa_user_sgpr_kernarg_segment_ptr 1
		.amdhsa_user_sgpr_dispatch_id 0
		.amdhsa_user_sgpr_flat_scratch_init 0
		.amdhsa_user_sgpr_private_segment_size 0
		.amdhsa_uses_dynamic_stack 0
		.amdhsa_system_sgpr_private_segment_wavefront_offset 0
		.amdhsa_system_sgpr_workgroup_id_x 1
		.amdhsa_system_sgpr_workgroup_id_y 1
		.amdhsa_system_sgpr_workgroup_id_z 1
		.amdhsa_system_sgpr_workgroup_info 0
		.amdhsa_system_vgpr_workitem_id 1
		.amdhsa_next_free_vgpr 8
		.amdhsa_next_free_sgpr 16
		.amdhsa_reserve_vcc 1
		.amdhsa_reserve_flat_scratch 0
		.amdhsa_float_round_mode_32 0
		.amdhsa_float_round_mode_16_64 0
		.amdhsa_float_denorm_mode_32 3
		.amdhsa_float_denorm_mode_16_64 3
		.amdhsa_dx10_clamp 1
		.amdhsa_ieee_mode 1
		.amdhsa_fp16_overflow 0
		.amdhsa_exception_fp_ieee_invalid_op 0
		.amdhsa_exception_fp_denorm_src 0
		.amdhsa_exception_fp_ieee_div_zero 0
		.amdhsa_exception_fp_ieee_overflow 0
		.amdhsa_exception_fp_ieee_underflow 0
		.amdhsa_exception_fp_ieee_inexact 0
		.amdhsa_exception_int_div_zero 0
	.end_amdhsa_kernel
	.section	.text._ZL40rocblas_copy_triangular_syrk_herk_kernelILb1ELb0ELb1E19rocblas_complex_numIdEPS1_Li16ELi16EEviT3_ilPT2_i,"axG",@progbits,_ZL40rocblas_copy_triangular_syrk_herk_kernelILb1ELb0ELb1E19rocblas_complex_numIdEPS1_Li16ELi16EEviT3_ilPT2_i,comdat
.Lfunc_end37:
	.size	_ZL40rocblas_copy_triangular_syrk_herk_kernelILb1ELb0ELb1E19rocblas_complex_numIdEPS1_Li16ELi16EEviT3_ilPT2_i, .Lfunc_end37-_ZL40rocblas_copy_triangular_syrk_herk_kernelILb1ELb0ELb1E19rocblas_complex_numIdEPS1_Li16ELi16EEviT3_ilPT2_i
                                        ; -- End function
	.set _ZL40rocblas_copy_triangular_syrk_herk_kernelILb1ELb0ELb1E19rocblas_complex_numIdEPS1_Li16ELi16EEviT3_ilPT2_i.num_vgpr, 8
	.set _ZL40rocblas_copy_triangular_syrk_herk_kernelILb1ELb0ELb1E19rocblas_complex_numIdEPS1_Li16ELi16EEviT3_ilPT2_i.num_agpr, 0
	.set _ZL40rocblas_copy_triangular_syrk_herk_kernelILb1ELb0ELb1E19rocblas_complex_numIdEPS1_Li16ELi16EEviT3_ilPT2_i.numbered_sgpr, 16
	.set _ZL40rocblas_copy_triangular_syrk_herk_kernelILb1ELb0ELb1E19rocblas_complex_numIdEPS1_Li16ELi16EEviT3_ilPT2_i.num_named_barrier, 0
	.set _ZL40rocblas_copy_triangular_syrk_herk_kernelILb1ELb0ELb1E19rocblas_complex_numIdEPS1_Li16ELi16EEviT3_ilPT2_i.private_seg_size, 0
	.set _ZL40rocblas_copy_triangular_syrk_herk_kernelILb1ELb0ELb1E19rocblas_complex_numIdEPS1_Li16ELi16EEviT3_ilPT2_i.uses_vcc, 1
	.set _ZL40rocblas_copy_triangular_syrk_herk_kernelILb1ELb0ELb1E19rocblas_complex_numIdEPS1_Li16ELi16EEviT3_ilPT2_i.uses_flat_scratch, 0
	.set _ZL40rocblas_copy_triangular_syrk_herk_kernelILb1ELb0ELb1E19rocblas_complex_numIdEPS1_Li16ELi16EEviT3_ilPT2_i.has_dyn_sized_stack, 0
	.set _ZL40rocblas_copy_triangular_syrk_herk_kernelILb1ELb0ELb1E19rocblas_complex_numIdEPS1_Li16ELi16EEviT3_ilPT2_i.has_recursion, 0
	.set _ZL40rocblas_copy_triangular_syrk_herk_kernelILb1ELb0ELb1E19rocblas_complex_numIdEPS1_Li16ELi16EEviT3_ilPT2_i.has_indirect_call, 0
	.section	.AMDGPU.csdata,"",@progbits
; Kernel info:
; codeLenInByte = 324
; TotalNumSgprs: 20
; NumVgprs: 8
; ScratchSize: 0
; MemoryBound: 0
; FloatMode: 240
; IeeeMode: 1
; LDSByteSize: 0 bytes/workgroup (compile time only)
; SGPRBlocks: 2
; VGPRBlocks: 1
; NumSGPRsForWavesPerEU: 20
; NumVGPRsForWavesPerEU: 8
; Occupancy: 10
; WaveLimiterHint : 0
; COMPUTE_PGM_RSRC2:SCRATCH_EN: 0
; COMPUTE_PGM_RSRC2:USER_SGPR: 6
; COMPUTE_PGM_RSRC2:TRAP_HANDLER: 0
; COMPUTE_PGM_RSRC2:TGID_X_EN: 1
; COMPUTE_PGM_RSRC2:TGID_Y_EN: 1
; COMPUTE_PGM_RSRC2:TGID_Z_EN: 1
; COMPUTE_PGM_RSRC2:TIDIG_COMP_CNT: 1
	.section	.text._ZL40rocblas_copy_triangular_syrk_herk_kernelILb0ELb1ELb1E19rocblas_complex_numIdEPS1_Li16ELi16EEviT3_ilPT2_i,"axG",@progbits,_ZL40rocblas_copy_triangular_syrk_herk_kernelILb0ELb1ELb1E19rocblas_complex_numIdEPS1_Li16ELi16EEviT3_ilPT2_i,comdat
	.globl	_ZL40rocblas_copy_triangular_syrk_herk_kernelILb0ELb1ELb1E19rocblas_complex_numIdEPS1_Li16ELi16EEviT3_ilPT2_i ; -- Begin function _ZL40rocblas_copy_triangular_syrk_herk_kernelILb0ELb1ELb1E19rocblas_complex_numIdEPS1_Li16ELi16EEviT3_ilPT2_i
	.p2align	8
	.type	_ZL40rocblas_copy_triangular_syrk_herk_kernelILb0ELb1ELb1E19rocblas_complex_numIdEPS1_Li16ELi16EEviT3_ilPT2_i,@function
_ZL40rocblas_copy_triangular_syrk_herk_kernelILb0ELb1ELb1E19rocblas_complex_numIdEPS1_Li16ELi16EEviT3_ilPT2_i: ; @_ZL40rocblas_copy_triangular_syrk_herk_kernelILb0ELb1ELb1E19rocblas_complex_numIdEPS1_Li16ELi16EEviT3_ilPT2_i
; %bb.0:
	s_load_dwordx4 s[12:15], s[4:5], 0x18
	s_load_dword s10, s[4:5], 0x0
	s_load_dwordx2 s[0:1], s[4:5], 0x8
	s_load_dword s9, s[4:5], 0x10
	s_load_dword s11, s[4:5], 0x3c
	s_waitcnt lgkmcnt(0)
	s_mul_i32 s2, s13, s8
	s_mul_hi_u32 s3, s12, s8
	s_add_i32 s3, s3, s2
	s_mul_i32 s2, s12, s8
	s_lshl_b64 s[2:3], s[2:3], 4
	s_add_u32 s4, s0, s2
	s_addc_u32 s5, s1, s3
	s_lshr_b32 s0, s11, 16
	s_mul_i32 s7, s7, s0
	s_and_b32 s0, s11, 0xffff
	s_mul_i32 s6, s6, s0
	v_add_u32_e32 v1, s7, v1
	v_add_u32_e32 v0, s6, v0
	v_cmp_gt_i32_e32 vcc, s10, v1
	v_cmp_gt_i32_e64 s[0:1], s10, v0
	v_cmp_gt_i32_e64 s[2:3], v1, v0
	s_and_b64 s[0:1], s[0:1], vcc
	s_and_b64 s[0:1], s[0:1], s[2:3]
	v_ashrrev_i32_e32 v2, 31, v1
	s_and_saveexec_b64 s[2:3], s[0:1]
	s_cbranch_execz .LBB38_2
; %bb.1:
	v_add_u32_e32 v3, -1, v1
	s_add_i32 s0, s10, -1
	v_mul_lo_u32 v3, v3, v1
	s_mul_hi_i32 s1, s0, s10
	s_mul_i32 s0, s0, s10
	s_lshr_b32 s6, s1, 31
	s_add_u32 s0, s0, s6
	s_addc_u32 s1, s1, 0
	v_lshrrev_b32_e32 v4, 31, v3
	s_ashr_i64 s[0:1], s[0:1], 1
	v_add_u32_e32 v3, v3, v4
	s_mul_i32 s1, s1, s8
	s_mul_hi_u32 s6, s0, s8
	v_ashrrev_i32_e32 v3, 1, v3
	s_add_i32 s1, s6, s1
	s_mul_i32 s0, s0, s8
	v_add_u32_e32 v3, v3, v0
	s_lshl_b64 s[0:1], s[0:1], 4
	v_ashrrev_i32_e32 v4, 31, v3
	s_add_u32 s0, s14, s0
	v_lshlrev_b64 v[3:4], 4, v[3:4]
	s_addc_u32 s1, s15, s1
	v_mov_b32_e32 v5, s1
	v_add_co_u32_e64 v3, s[0:1], s0, v3
	v_addc_co_u32_e64 v4, s[0:1], v5, v4, s[0:1]
	global_load_dwordx4 v[3:6], v[3:4], off
	v_mad_i64_i32 v[7:8], s[0:1], v0, s9, 0
	v_mov_b32_e32 v9, s5
	v_lshlrev_b64 v[7:8], 4, v[7:8]
	v_add_co_u32_e64 v10, s[0:1], s4, v7
	v_addc_co_u32_e64 v9, s[0:1], v9, v8, s[0:1]
	v_lshlrev_b64 v[7:8], 4, v[1:2]
	v_add_co_u32_e64 v7, s[0:1], v10, v7
	v_addc_co_u32_e64 v8, s[0:1], v9, v8, s[0:1]
	s_waitcnt vmcnt(0)
	global_store_dwordx4 v[7:8], v[3:6], off
.LBB38_2:
	s_or_b64 exec, exec, s[2:3]
	v_cmp_eq_u32_e64 s[0:1], v1, v0
	s_and_b64 s[0:1], vcc, s[0:1]
	s_and_saveexec_b64 s[2:3], s[0:1]
	s_cbranch_execz .LBB38_4
; %bb.3:
	v_mad_i64_i32 v[0:1], s[0:1], v1, s9, v[1:2]
	v_mov_b32_e32 v2, s5
	v_lshlrev_b64 v[0:1], 4, v[0:1]
	v_add_co_u32_e32 v0, vcc, s4, v0
	v_addc_co_u32_e32 v1, vcc, v2, v1, vcc
	v_mov_b32_e32 v2, 0
	v_mov_b32_e32 v3, v2
	global_store_dwordx2 v[0:1], v[2:3], off offset:8
.LBB38_4:
	s_endpgm
	.section	.rodata,"a",@progbits
	.p2align	6, 0x0
	.amdhsa_kernel _ZL40rocblas_copy_triangular_syrk_herk_kernelILb0ELb1ELb1E19rocblas_complex_numIdEPS1_Li16ELi16EEviT3_ilPT2_i
		.amdhsa_group_segment_fixed_size 0
		.amdhsa_private_segment_fixed_size 0
		.amdhsa_kernarg_size 304
		.amdhsa_user_sgpr_count 6
		.amdhsa_user_sgpr_private_segment_buffer 1
		.amdhsa_user_sgpr_dispatch_ptr 0
		.amdhsa_user_sgpr_queue_ptr 0
		.amdhsa_user_sgpr_kernarg_segment_ptr 1
		.amdhsa_user_sgpr_dispatch_id 0
		.amdhsa_user_sgpr_flat_scratch_init 0
		.amdhsa_user_sgpr_private_segment_size 0
		.amdhsa_uses_dynamic_stack 0
		.amdhsa_system_sgpr_private_segment_wavefront_offset 0
		.amdhsa_system_sgpr_workgroup_id_x 1
		.amdhsa_system_sgpr_workgroup_id_y 1
		.amdhsa_system_sgpr_workgroup_id_z 1
		.amdhsa_system_sgpr_workgroup_info 0
		.amdhsa_system_vgpr_workitem_id 1
		.amdhsa_next_free_vgpr 11
		.amdhsa_next_free_sgpr 16
		.amdhsa_reserve_vcc 1
		.amdhsa_reserve_flat_scratch 0
		.amdhsa_float_round_mode_32 0
		.amdhsa_float_round_mode_16_64 0
		.amdhsa_float_denorm_mode_32 3
		.amdhsa_float_denorm_mode_16_64 3
		.amdhsa_dx10_clamp 1
		.amdhsa_ieee_mode 1
		.amdhsa_fp16_overflow 0
		.amdhsa_exception_fp_ieee_invalid_op 0
		.amdhsa_exception_fp_denorm_src 0
		.amdhsa_exception_fp_ieee_div_zero 0
		.amdhsa_exception_fp_ieee_overflow 0
		.amdhsa_exception_fp_ieee_underflow 0
		.amdhsa_exception_fp_ieee_inexact 0
		.amdhsa_exception_int_div_zero 0
	.end_amdhsa_kernel
	.section	.text._ZL40rocblas_copy_triangular_syrk_herk_kernelILb0ELb1ELb1E19rocblas_complex_numIdEPS1_Li16ELi16EEviT3_ilPT2_i,"axG",@progbits,_ZL40rocblas_copy_triangular_syrk_herk_kernelILb0ELb1ELb1E19rocblas_complex_numIdEPS1_Li16ELi16EEviT3_ilPT2_i,comdat
.Lfunc_end38:
	.size	_ZL40rocblas_copy_triangular_syrk_herk_kernelILb0ELb1ELb1E19rocblas_complex_numIdEPS1_Li16ELi16EEviT3_ilPT2_i, .Lfunc_end38-_ZL40rocblas_copy_triangular_syrk_herk_kernelILb0ELb1ELb1E19rocblas_complex_numIdEPS1_Li16ELi16EEviT3_ilPT2_i
                                        ; -- End function
	.set _ZL40rocblas_copy_triangular_syrk_herk_kernelILb0ELb1ELb1E19rocblas_complex_numIdEPS1_Li16ELi16EEviT3_ilPT2_i.num_vgpr, 11
	.set _ZL40rocblas_copy_triangular_syrk_herk_kernelILb0ELb1ELb1E19rocblas_complex_numIdEPS1_Li16ELi16EEviT3_ilPT2_i.num_agpr, 0
	.set _ZL40rocblas_copy_triangular_syrk_herk_kernelILb0ELb1ELb1E19rocblas_complex_numIdEPS1_Li16ELi16EEviT3_ilPT2_i.numbered_sgpr, 16
	.set _ZL40rocblas_copy_triangular_syrk_herk_kernelILb0ELb1ELb1E19rocblas_complex_numIdEPS1_Li16ELi16EEviT3_ilPT2_i.num_named_barrier, 0
	.set _ZL40rocblas_copy_triangular_syrk_herk_kernelILb0ELb1ELb1E19rocblas_complex_numIdEPS1_Li16ELi16EEviT3_ilPT2_i.private_seg_size, 0
	.set _ZL40rocblas_copy_triangular_syrk_herk_kernelILb0ELb1ELb1E19rocblas_complex_numIdEPS1_Li16ELi16EEviT3_ilPT2_i.uses_vcc, 1
	.set _ZL40rocblas_copy_triangular_syrk_herk_kernelILb0ELb1ELb1E19rocblas_complex_numIdEPS1_Li16ELi16EEviT3_ilPT2_i.uses_flat_scratch, 0
	.set _ZL40rocblas_copy_triangular_syrk_herk_kernelILb0ELb1ELb1E19rocblas_complex_numIdEPS1_Li16ELi16EEviT3_ilPT2_i.has_dyn_sized_stack, 0
	.set _ZL40rocblas_copy_triangular_syrk_herk_kernelILb0ELb1ELb1E19rocblas_complex_numIdEPS1_Li16ELi16EEviT3_ilPT2_i.has_recursion, 0
	.set _ZL40rocblas_copy_triangular_syrk_herk_kernelILb0ELb1ELb1E19rocblas_complex_numIdEPS1_Li16ELi16EEviT3_ilPT2_i.has_indirect_call, 0
	.section	.AMDGPU.csdata,"",@progbits
; Kernel info:
; codeLenInByte = 408
; TotalNumSgprs: 20
; NumVgprs: 11
; ScratchSize: 0
; MemoryBound: 0
; FloatMode: 240
; IeeeMode: 1
; LDSByteSize: 0 bytes/workgroup (compile time only)
; SGPRBlocks: 2
; VGPRBlocks: 2
; NumSGPRsForWavesPerEU: 20
; NumVGPRsForWavesPerEU: 11
; Occupancy: 10
; WaveLimiterHint : 0
; COMPUTE_PGM_RSRC2:SCRATCH_EN: 0
; COMPUTE_PGM_RSRC2:USER_SGPR: 6
; COMPUTE_PGM_RSRC2:TRAP_HANDLER: 0
; COMPUTE_PGM_RSRC2:TGID_X_EN: 1
; COMPUTE_PGM_RSRC2:TGID_Y_EN: 1
; COMPUTE_PGM_RSRC2:TGID_Z_EN: 1
; COMPUTE_PGM_RSRC2:TIDIG_COMP_CNT: 1
	.section	.text._ZL40rocblas_copy_triangular_syrk_herk_kernelILb0ELb0ELb1E19rocblas_complex_numIdEPS1_Li16ELi16EEviT3_ilPT2_i,"axG",@progbits,_ZL40rocblas_copy_triangular_syrk_herk_kernelILb0ELb0ELb1E19rocblas_complex_numIdEPS1_Li16ELi16EEviT3_ilPT2_i,comdat
	.globl	_ZL40rocblas_copy_triangular_syrk_herk_kernelILb0ELb0ELb1E19rocblas_complex_numIdEPS1_Li16ELi16EEviT3_ilPT2_i ; -- Begin function _ZL40rocblas_copy_triangular_syrk_herk_kernelILb0ELb0ELb1E19rocblas_complex_numIdEPS1_Li16ELi16EEviT3_ilPT2_i
	.p2align	8
	.type	_ZL40rocblas_copy_triangular_syrk_herk_kernelILb0ELb0ELb1E19rocblas_complex_numIdEPS1_Li16ELi16EEviT3_ilPT2_i,@function
_ZL40rocblas_copy_triangular_syrk_herk_kernelILb0ELb0ELb1E19rocblas_complex_numIdEPS1_Li16ELi16EEviT3_ilPT2_i: ; @_ZL40rocblas_copy_triangular_syrk_herk_kernelILb0ELb0ELb1E19rocblas_complex_numIdEPS1_Li16ELi16EEviT3_ilPT2_i
; %bb.0:
	s_load_dwordx4 s[0:3], s[4:5], 0x18
	s_load_dword s10, s[4:5], 0x0
	s_load_dwordx2 s[12:13], s[4:5], 0x8
	s_load_dword s9, s[4:5], 0x10
	s_load_dword s11, s[4:5], 0x3c
	s_waitcnt lgkmcnt(0)
	s_mul_i32 s1, s1, s8
	s_mul_hi_u32 s4, s0, s8
	s_add_i32 s1, s4, s1
	s_mul_i32 s0, s0, s8
	s_lshl_b64 s[0:1], s[0:1], 4
	s_add_u32 s4, s12, s0
	s_addc_u32 s5, s13, s1
	s_lshr_b32 s0, s11, 16
	s_mul_i32 s7, s7, s0
	s_and_b32 s0, s11, 0xffff
	s_mul_i32 s6, s6, s0
	v_add_u32_e32 v1, s7, v1
	v_add_u32_e32 v0, s6, v0
	v_cmp_gt_i32_e32 vcc, s10, v0
	v_cmp_lt_i32_e64 s[0:1], v1, v0
	s_and_b64 s[6:7], vcc, s[0:1]
	v_ashrrev_i32_e32 v2, 31, v1
	s_and_saveexec_b64 s[0:1], s[6:7]
	s_cbranch_execz .LBB39_2
; %bb.1:
	v_not_b32_e32 v3, v1
	v_lshl_add_u32 v4, s10, 1, v3
	s_add_i32 s6, s10, -1
	v_mul_lo_u32 v4, v4, v1
	s_mul_hi_i32 s7, s6, s10
	s_mul_i32 s6, s6, s10
	s_lshr_b32 s11, s7, 31
	s_add_u32 s6, s6, s11
	s_addc_u32 s7, s7, 0
	v_lshrrev_b32_e32 v5, 31, v4
	s_ashr_i64 s[6:7], s[6:7], 1
	v_add_u32_e32 v4, v4, v5
	s_mul_i32 s7, s7, s8
	s_mul_hi_u32 s11, s6, s8
	v_ashrrev_i32_e32 v4, 1, v4
	s_add_i32 s7, s11, s7
	s_mul_i32 s6, s6, s8
	v_add3_u32 v3, v0, v3, v4
	s_lshl_b64 s[6:7], s[6:7], 4
	v_ashrrev_i32_e32 v4, 31, v3
	s_add_u32 s2, s2, s6
	v_lshlrev_b64 v[3:4], 4, v[3:4]
	s_addc_u32 s3, s3, s7
	v_mov_b32_e32 v5, s3
	v_add_co_u32_e32 v3, vcc, s2, v3
	v_addc_co_u32_e32 v4, vcc, v5, v4, vcc
	global_load_dwordx4 v[3:6], v[3:4], off
	v_mad_i64_i32 v[7:8], s[2:3], v0, s9, 0
	v_mov_b32_e32 v9, s5
	v_lshlrev_b64 v[7:8], 4, v[7:8]
	v_add_co_u32_e32 v10, vcc, s4, v7
	v_addc_co_u32_e32 v9, vcc, v9, v8, vcc
	v_lshlrev_b64 v[7:8], 4, v[1:2]
	v_add_co_u32_e32 v7, vcc, v10, v7
	v_addc_co_u32_e32 v8, vcc, v9, v8, vcc
	s_waitcnt vmcnt(0)
	global_store_dwordx4 v[7:8], v[3:6], off
.LBB39_2:
	s_or_b64 exec, exec, s[0:1]
	v_cmp_gt_i32_e32 vcc, s10, v1
	v_cmp_eq_u32_e64 s[0:1], v1, v0
	s_and_b64 s[0:1], vcc, s[0:1]
	s_and_saveexec_b64 s[2:3], s[0:1]
	s_cbranch_execz .LBB39_4
; %bb.3:
	v_mad_i64_i32 v[0:1], s[0:1], v1, s9, v[1:2]
	v_mov_b32_e32 v2, s5
	v_lshlrev_b64 v[0:1], 4, v[0:1]
	v_add_co_u32_e32 v0, vcc, s4, v0
	v_addc_co_u32_e32 v1, vcc, v2, v1, vcc
	v_mov_b32_e32 v2, 0
	v_mov_b32_e32 v3, v2
	global_store_dwordx2 v[0:1], v[2:3], off offset:8
.LBB39_4:
	s_endpgm
	.section	.rodata,"a",@progbits
	.p2align	6, 0x0
	.amdhsa_kernel _ZL40rocblas_copy_triangular_syrk_herk_kernelILb0ELb0ELb1E19rocblas_complex_numIdEPS1_Li16ELi16EEviT3_ilPT2_i
		.amdhsa_group_segment_fixed_size 0
		.amdhsa_private_segment_fixed_size 0
		.amdhsa_kernarg_size 304
		.amdhsa_user_sgpr_count 6
		.amdhsa_user_sgpr_private_segment_buffer 1
		.amdhsa_user_sgpr_dispatch_ptr 0
		.amdhsa_user_sgpr_queue_ptr 0
		.amdhsa_user_sgpr_kernarg_segment_ptr 1
		.amdhsa_user_sgpr_dispatch_id 0
		.amdhsa_user_sgpr_flat_scratch_init 0
		.amdhsa_user_sgpr_private_segment_size 0
		.amdhsa_uses_dynamic_stack 0
		.amdhsa_system_sgpr_private_segment_wavefront_offset 0
		.amdhsa_system_sgpr_workgroup_id_x 1
		.amdhsa_system_sgpr_workgroup_id_y 1
		.amdhsa_system_sgpr_workgroup_id_z 1
		.amdhsa_system_sgpr_workgroup_info 0
		.amdhsa_system_vgpr_workitem_id 1
		.amdhsa_next_free_vgpr 11
		.amdhsa_next_free_sgpr 14
		.amdhsa_reserve_vcc 1
		.amdhsa_reserve_flat_scratch 0
		.amdhsa_float_round_mode_32 0
		.amdhsa_float_round_mode_16_64 0
		.amdhsa_float_denorm_mode_32 3
		.amdhsa_float_denorm_mode_16_64 3
		.amdhsa_dx10_clamp 1
		.amdhsa_ieee_mode 1
		.amdhsa_fp16_overflow 0
		.amdhsa_exception_fp_ieee_invalid_op 0
		.amdhsa_exception_fp_denorm_src 0
		.amdhsa_exception_fp_ieee_div_zero 0
		.amdhsa_exception_fp_ieee_overflow 0
		.amdhsa_exception_fp_ieee_underflow 0
		.amdhsa_exception_fp_ieee_inexact 0
		.amdhsa_exception_int_div_zero 0
	.end_amdhsa_kernel
	.section	.text._ZL40rocblas_copy_triangular_syrk_herk_kernelILb0ELb0ELb1E19rocblas_complex_numIdEPS1_Li16ELi16EEviT3_ilPT2_i,"axG",@progbits,_ZL40rocblas_copy_triangular_syrk_herk_kernelILb0ELb0ELb1E19rocblas_complex_numIdEPS1_Li16ELi16EEviT3_ilPT2_i,comdat
.Lfunc_end39:
	.size	_ZL40rocblas_copy_triangular_syrk_herk_kernelILb0ELb0ELb1E19rocblas_complex_numIdEPS1_Li16ELi16EEviT3_ilPT2_i, .Lfunc_end39-_ZL40rocblas_copy_triangular_syrk_herk_kernelILb0ELb0ELb1E19rocblas_complex_numIdEPS1_Li16ELi16EEviT3_ilPT2_i
                                        ; -- End function
	.set _ZL40rocblas_copy_triangular_syrk_herk_kernelILb0ELb0ELb1E19rocblas_complex_numIdEPS1_Li16ELi16EEviT3_ilPT2_i.num_vgpr, 11
	.set _ZL40rocblas_copy_triangular_syrk_herk_kernelILb0ELb0ELb1E19rocblas_complex_numIdEPS1_Li16ELi16EEviT3_ilPT2_i.num_agpr, 0
	.set _ZL40rocblas_copy_triangular_syrk_herk_kernelILb0ELb0ELb1E19rocblas_complex_numIdEPS1_Li16ELi16EEviT3_ilPT2_i.numbered_sgpr, 14
	.set _ZL40rocblas_copy_triangular_syrk_herk_kernelILb0ELb0ELb1E19rocblas_complex_numIdEPS1_Li16ELi16EEviT3_ilPT2_i.num_named_barrier, 0
	.set _ZL40rocblas_copy_triangular_syrk_herk_kernelILb0ELb0ELb1E19rocblas_complex_numIdEPS1_Li16ELi16EEviT3_ilPT2_i.private_seg_size, 0
	.set _ZL40rocblas_copy_triangular_syrk_herk_kernelILb0ELb0ELb1E19rocblas_complex_numIdEPS1_Li16ELi16EEviT3_ilPT2_i.uses_vcc, 1
	.set _ZL40rocblas_copy_triangular_syrk_herk_kernelILb0ELb0ELb1E19rocblas_complex_numIdEPS1_Li16ELi16EEviT3_ilPT2_i.uses_flat_scratch, 0
	.set _ZL40rocblas_copy_triangular_syrk_herk_kernelILb0ELb0ELb1E19rocblas_complex_numIdEPS1_Li16ELi16EEviT3_ilPT2_i.has_dyn_sized_stack, 0
	.set _ZL40rocblas_copy_triangular_syrk_herk_kernelILb0ELb0ELb1E19rocblas_complex_numIdEPS1_Li16ELi16EEviT3_ilPT2_i.has_recursion, 0
	.set _ZL40rocblas_copy_triangular_syrk_herk_kernelILb0ELb0ELb1E19rocblas_complex_numIdEPS1_Li16ELi16EEviT3_ilPT2_i.has_indirect_call, 0
	.section	.AMDGPU.csdata,"",@progbits
; Kernel info:
; codeLenInByte = 388
; TotalNumSgprs: 18
; NumVgprs: 11
; ScratchSize: 0
; MemoryBound: 0
; FloatMode: 240
; IeeeMode: 1
; LDSByteSize: 0 bytes/workgroup (compile time only)
; SGPRBlocks: 2
; VGPRBlocks: 2
; NumSGPRsForWavesPerEU: 18
; NumVGPRsForWavesPerEU: 11
; Occupancy: 10
; WaveLimiterHint : 0
; COMPUTE_PGM_RSRC2:SCRATCH_EN: 0
; COMPUTE_PGM_RSRC2:USER_SGPR: 6
; COMPUTE_PGM_RSRC2:TRAP_HANDLER: 0
; COMPUTE_PGM_RSRC2:TGID_X_EN: 1
; COMPUTE_PGM_RSRC2:TGID_Y_EN: 1
; COMPUTE_PGM_RSRC2:TGID_Z_EN: 1
; COMPUTE_PGM_RSRC2:TIDIG_COMP_CNT: 1
	.section	.text._ZL40rocblas_copy_triangular_syrk_herk_kernelILb1ELb1ELb1E19rocblas_complex_numIfEPKPS1_Li16ELi16EEviT3_ilPT2_i,"axG",@progbits,_ZL40rocblas_copy_triangular_syrk_herk_kernelILb1ELb1ELb1E19rocblas_complex_numIfEPKPS1_Li16ELi16EEviT3_ilPT2_i,comdat
	.globl	_ZL40rocblas_copy_triangular_syrk_herk_kernelILb1ELb1ELb1E19rocblas_complex_numIfEPKPS1_Li16ELi16EEviT3_ilPT2_i ; -- Begin function _ZL40rocblas_copy_triangular_syrk_herk_kernelILb1ELb1ELb1E19rocblas_complex_numIfEPKPS1_Li16ELi16EEviT3_ilPT2_i
	.p2align	8
	.type	_ZL40rocblas_copy_triangular_syrk_herk_kernelILb1ELb1ELb1E19rocblas_complex_numIfEPKPS1_Li16ELi16EEviT3_ilPT2_i,@function
_ZL40rocblas_copy_triangular_syrk_herk_kernelILb1ELb1ELb1E19rocblas_complex_numIfEPKPS1_Li16ELi16EEviT3_ilPT2_i: ; @_ZL40rocblas_copy_triangular_syrk_herk_kernelILb1ELb1ELb1E19rocblas_complex_numIfEPKPS1_Li16ELi16EEviT3_ilPT2_i
; %bb.0:
	s_load_dword s0, s[4:5], 0x3c
	s_load_dword s2, s[4:5], 0x0
	s_waitcnt lgkmcnt(0)
	s_lshr_b32 s1, s0, 16
	s_and_b32 s0, s0, 0xffff
	s_mul_i32 s7, s7, s1
	s_mul_i32 s6, s6, s0
	v_add_u32_e32 v1, s7, v1
	v_add_u32_e32 v0, s6, v0
	v_max_i32_e32 v2, v1, v0
	v_cmp_gt_i32_e32 vcc, s2, v2
	v_cmp_gt_i32_e64 s[0:1], v1, v0
	s_and_b64 s[0:1], s[0:1], vcc
	s_and_saveexec_b64 s[6:7], s[0:1]
	s_cbranch_execz .LBB40_2
; %bb.1:
	s_add_i32 s3, s2, -1
	s_load_dwordx2 s[0:1], s[4:5], 0x8
	s_load_dword s10, s[4:5], 0x10
	s_load_dwordx2 s[6:7], s[4:5], 0x20
	s_mul_hi_i32 s4, s3, s2
	s_mul_i32 s3, s3, s2
	s_lshr_b32 s2, s4, 31
	s_add_u32 s2, s3, s2
	s_addc_u32 s3, s4, 0
	s_ashr_i64 s[2:3], s[2:3], 1
	s_mul_i32 s3, s3, s8
	s_mul_hi_u32 s4, s2, s8
	s_add_i32 s3, s4, s3
	s_mul_i32 s2, s2, s8
	s_lshl_b64 s[2:3], s[2:3], 3
	s_mov_b32 s9, 0
	s_waitcnt lgkmcnt(0)
	s_add_u32 s4, s6, s2
	s_addc_u32 s5, s7, s3
	s_lshl_b64 s[2:3], s[8:9], 3
	s_add_u32 s0, s0, s2
	s_addc_u32 s1, s1, s3
	v_mad_i64_i32 v[3:4], s[2:3], v0, s10, 0
	s_load_dwordx2 s[0:1], s[0:1], 0x0
	v_ashrrev_i32_e32 v2, 31, v1
	v_lshlrev_b64 v[3:4], 3, v[3:4]
	s_waitcnt lgkmcnt(0)
	v_mov_b32_e32 v5, s1
	v_add_co_u32_e32 v6, vcc, s0, v3
	v_lshlrev_b64 v[2:3], 3, v[1:2]
	v_addc_co_u32_e32 v4, vcc, v5, v4, vcc
	v_add_co_u32_e32 v2, vcc, v6, v2
	v_addc_co_u32_e32 v3, vcc, v4, v3, vcc
	flat_load_dwordx2 v[2:3], v[2:3]
	v_add_u32_e32 v4, -1, v1
	v_mul_lo_u32 v1, v4, v1
	v_lshrrev_b32_e32 v4, 31, v1
	v_add_u32_e32 v1, v1, v4
	v_ashrrev_i32_e32 v1, 1, v1
	v_add_u32_e32 v0, v1, v0
	v_ashrrev_i32_e32 v1, 31, v0
	v_lshlrev_b64 v[0:1], 3, v[0:1]
	v_mov_b32_e32 v4, s5
	v_add_co_u32_e32 v0, vcc, s4, v0
	v_addc_co_u32_e32 v1, vcc, v4, v1, vcc
	s_waitcnt vmcnt(0) lgkmcnt(0)
	global_store_dwordx2 v[0:1], v[2:3], off
.LBB40_2:
	s_endpgm
	.section	.rodata,"a",@progbits
	.p2align	6, 0x0
	.amdhsa_kernel _ZL40rocblas_copy_triangular_syrk_herk_kernelILb1ELb1ELb1E19rocblas_complex_numIfEPKPS1_Li16ELi16EEviT3_ilPT2_i
		.amdhsa_group_segment_fixed_size 0
		.amdhsa_private_segment_fixed_size 0
		.amdhsa_kernarg_size 304
		.amdhsa_user_sgpr_count 6
		.amdhsa_user_sgpr_private_segment_buffer 1
		.amdhsa_user_sgpr_dispatch_ptr 0
		.amdhsa_user_sgpr_queue_ptr 0
		.amdhsa_user_sgpr_kernarg_segment_ptr 1
		.amdhsa_user_sgpr_dispatch_id 0
		.amdhsa_user_sgpr_flat_scratch_init 0
		.amdhsa_user_sgpr_private_segment_size 0
		.amdhsa_uses_dynamic_stack 0
		.amdhsa_system_sgpr_private_segment_wavefront_offset 0
		.amdhsa_system_sgpr_workgroup_id_x 1
		.amdhsa_system_sgpr_workgroup_id_y 1
		.amdhsa_system_sgpr_workgroup_id_z 1
		.amdhsa_system_sgpr_workgroup_info 0
		.amdhsa_system_vgpr_workitem_id 1
		.amdhsa_next_free_vgpr 7
		.amdhsa_next_free_sgpr 11
		.amdhsa_reserve_vcc 1
		.amdhsa_reserve_flat_scratch 0
		.amdhsa_float_round_mode_32 0
		.amdhsa_float_round_mode_16_64 0
		.amdhsa_float_denorm_mode_32 3
		.amdhsa_float_denorm_mode_16_64 3
		.amdhsa_dx10_clamp 1
		.amdhsa_ieee_mode 1
		.amdhsa_fp16_overflow 0
		.amdhsa_exception_fp_ieee_invalid_op 0
		.amdhsa_exception_fp_denorm_src 0
		.amdhsa_exception_fp_ieee_div_zero 0
		.amdhsa_exception_fp_ieee_overflow 0
		.amdhsa_exception_fp_ieee_underflow 0
		.amdhsa_exception_fp_ieee_inexact 0
		.amdhsa_exception_int_div_zero 0
	.end_amdhsa_kernel
	.section	.text._ZL40rocblas_copy_triangular_syrk_herk_kernelILb1ELb1ELb1E19rocblas_complex_numIfEPKPS1_Li16ELi16EEviT3_ilPT2_i,"axG",@progbits,_ZL40rocblas_copy_triangular_syrk_herk_kernelILb1ELb1ELb1E19rocblas_complex_numIfEPKPS1_Li16ELi16EEviT3_ilPT2_i,comdat
.Lfunc_end40:
	.size	_ZL40rocblas_copy_triangular_syrk_herk_kernelILb1ELb1ELb1E19rocblas_complex_numIfEPKPS1_Li16ELi16EEviT3_ilPT2_i, .Lfunc_end40-_ZL40rocblas_copy_triangular_syrk_herk_kernelILb1ELb1ELb1E19rocblas_complex_numIfEPKPS1_Li16ELi16EEviT3_ilPT2_i
                                        ; -- End function
	.set _ZL40rocblas_copy_triangular_syrk_herk_kernelILb1ELb1ELb1E19rocblas_complex_numIfEPKPS1_Li16ELi16EEviT3_ilPT2_i.num_vgpr, 7
	.set _ZL40rocblas_copy_triangular_syrk_herk_kernelILb1ELb1ELb1E19rocblas_complex_numIfEPKPS1_Li16ELi16EEviT3_ilPT2_i.num_agpr, 0
	.set _ZL40rocblas_copy_triangular_syrk_herk_kernelILb1ELb1ELb1E19rocblas_complex_numIfEPKPS1_Li16ELi16EEviT3_ilPT2_i.numbered_sgpr, 11
	.set _ZL40rocblas_copy_triangular_syrk_herk_kernelILb1ELb1ELb1E19rocblas_complex_numIfEPKPS1_Li16ELi16EEviT3_ilPT2_i.num_named_barrier, 0
	.set _ZL40rocblas_copy_triangular_syrk_herk_kernelILb1ELb1ELb1E19rocblas_complex_numIfEPKPS1_Li16ELi16EEviT3_ilPT2_i.private_seg_size, 0
	.set _ZL40rocblas_copy_triangular_syrk_herk_kernelILb1ELb1ELb1E19rocblas_complex_numIfEPKPS1_Li16ELi16EEviT3_ilPT2_i.uses_vcc, 1
	.set _ZL40rocblas_copy_triangular_syrk_herk_kernelILb1ELb1ELb1E19rocblas_complex_numIfEPKPS1_Li16ELi16EEviT3_ilPT2_i.uses_flat_scratch, 0
	.set _ZL40rocblas_copy_triangular_syrk_herk_kernelILb1ELb1ELb1E19rocblas_complex_numIfEPKPS1_Li16ELi16EEviT3_ilPT2_i.has_dyn_sized_stack, 0
	.set _ZL40rocblas_copy_triangular_syrk_herk_kernelILb1ELb1ELb1E19rocblas_complex_numIfEPKPS1_Li16ELi16EEviT3_ilPT2_i.has_recursion, 0
	.set _ZL40rocblas_copy_triangular_syrk_herk_kernelILb1ELb1ELb1E19rocblas_complex_numIfEPKPS1_Li16ELi16EEviT3_ilPT2_i.has_indirect_call, 0
	.section	.AMDGPU.csdata,"",@progbits
; Kernel info:
; codeLenInByte = 312
; TotalNumSgprs: 15
; NumVgprs: 7
; ScratchSize: 0
; MemoryBound: 0
; FloatMode: 240
; IeeeMode: 1
; LDSByteSize: 0 bytes/workgroup (compile time only)
; SGPRBlocks: 1
; VGPRBlocks: 1
; NumSGPRsForWavesPerEU: 15
; NumVGPRsForWavesPerEU: 7
; Occupancy: 10
; WaveLimiterHint : 1
; COMPUTE_PGM_RSRC2:SCRATCH_EN: 0
; COMPUTE_PGM_RSRC2:USER_SGPR: 6
; COMPUTE_PGM_RSRC2:TRAP_HANDLER: 0
; COMPUTE_PGM_RSRC2:TGID_X_EN: 1
; COMPUTE_PGM_RSRC2:TGID_Y_EN: 1
; COMPUTE_PGM_RSRC2:TGID_Z_EN: 1
; COMPUTE_PGM_RSRC2:TIDIG_COMP_CNT: 1
	.section	.text._ZL40rocblas_copy_triangular_syrk_herk_kernelILb1ELb0ELb1E19rocblas_complex_numIfEPKPS1_Li16ELi16EEviT3_ilPT2_i,"axG",@progbits,_ZL40rocblas_copy_triangular_syrk_herk_kernelILb1ELb0ELb1E19rocblas_complex_numIfEPKPS1_Li16ELi16EEviT3_ilPT2_i,comdat
	.globl	_ZL40rocblas_copy_triangular_syrk_herk_kernelILb1ELb0ELb1E19rocblas_complex_numIfEPKPS1_Li16ELi16EEviT3_ilPT2_i ; -- Begin function _ZL40rocblas_copy_triangular_syrk_herk_kernelILb1ELb0ELb1E19rocblas_complex_numIfEPKPS1_Li16ELi16EEviT3_ilPT2_i
	.p2align	8
	.type	_ZL40rocblas_copy_triangular_syrk_herk_kernelILb1ELb0ELb1E19rocblas_complex_numIfEPKPS1_Li16ELi16EEviT3_ilPT2_i,@function
_ZL40rocblas_copy_triangular_syrk_herk_kernelILb1ELb0ELb1E19rocblas_complex_numIfEPKPS1_Li16ELi16EEviT3_ilPT2_i: ; @_ZL40rocblas_copy_triangular_syrk_herk_kernelILb1ELb0ELb1E19rocblas_complex_numIfEPKPS1_Li16ELi16EEviT3_ilPT2_i
; %bb.0:
	s_load_dword s0, s[4:5], 0x3c
	s_load_dword s2, s[4:5], 0x0
	s_waitcnt lgkmcnt(0)
	s_lshr_b32 s1, s0, 16
	s_and_b32 s0, s0, 0xffff
	s_mul_i32 s7, s7, s1
	s_mul_i32 s6, s6, s0
	v_add_u32_e32 v1, s7, v1
	v_add_u32_e32 v0, s6, v0
	v_max_i32_e32 v2, v1, v0
	v_cmp_gt_i32_e32 vcc, s2, v2
	v_cmp_lt_i32_e64 s[0:1], v1, v0
	s_and_b64 s[0:1], s[0:1], vcc
	s_and_saveexec_b64 s[6:7], s[0:1]
	s_cbranch_execz .LBB41_2
; %bb.1:
	s_load_dwordx2 s[0:1], s[4:5], 0x8
	s_load_dword s3, s[4:5], 0x10
	s_load_dwordx2 s[6:7], s[4:5], 0x20
	s_add_i32 s4, s2, -1
	s_mul_hi_i32 s5, s4, s2
	s_mul_i32 s4, s4, s2
	s_lshr_b32 s10, s5, 31
	s_add_u32 s4, s4, s10
	s_addc_u32 s5, s5, 0
	s_ashr_i64 s[4:5], s[4:5], 1
	s_mul_i32 s5, s5, s8
	s_mul_hi_u32 s10, s4, s8
	s_add_i32 s5, s10, s5
	s_mul_i32 s4, s4, s8
	s_lshl_b64 s[4:5], s[4:5], 3
	s_mov_b32 s9, 0
	s_waitcnt lgkmcnt(0)
	s_add_u32 s6, s6, s4
	s_addc_u32 s7, s7, s5
	s_lshl_b64 s[4:5], s[8:9], 3
	s_add_u32 s0, s0, s4
	s_addc_u32 s1, s1, s5
	v_mad_i64_i32 v[3:4], s[4:5], v0, s3, 0
	s_load_dwordx2 s[0:1], s[0:1], 0x0
	v_ashrrev_i32_e32 v2, 31, v1
	v_lshlrev_b64 v[3:4], 3, v[3:4]
	s_waitcnt lgkmcnt(0)
	v_mov_b32_e32 v5, s1
	v_add_co_u32_e32 v6, vcc, s0, v3
	v_lshlrev_b64 v[2:3], 3, v[1:2]
	v_addc_co_u32_e32 v4, vcc, v5, v4, vcc
	v_add_co_u32_e32 v2, vcc, v6, v2
	v_addc_co_u32_e32 v3, vcc, v4, v3, vcc
	flat_load_dwordx2 v[2:3], v[2:3]
	v_not_b32_e32 v4, v1
	v_lshl_add_u32 v5, s2, 1, v4
	v_mul_lo_u32 v1, v5, v1
	v_lshrrev_b32_e32 v5, 31, v1
	v_add_u32_e32 v1, v1, v5
	v_ashrrev_i32_e32 v1, 1, v1
	v_add3_u32 v0, v0, v4, v1
	v_ashrrev_i32_e32 v1, 31, v0
	v_lshlrev_b64 v[0:1], 3, v[0:1]
	v_mov_b32_e32 v4, s7
	v_add_co_u32_e32 v0, vcc, s6, v0
	v_addc_co_u32_e32 v1, vcc, v4, v1, vcc
	s_waitcnt vmcnt(0) lgkmcnt(0)
	global_store_dwordx2 v[0:1], v[2:3], off
.LBB41_2:
	s_endpgm
	.section	.rodata,"a",@progbits
	.p2align	6, 0x0
	.amdhsa_kernel _ZL40rocblas_copy_triangular_syrk_herk_kernelILb1ELb0ELb1E19rocblas_complex_numIfEPKPS1_Li16ELi16EEviT3_ilPT2_i
		.amdhsa_group_segment_fixed_size 0
		.amdhsa_private_segment_fixed_size 0
		.amdhsa_kernarg_size 304
		.amdhsa_user_sgpr_count 6
		.amdhsa_user_sgpr_private_segment_buffer 1
		.amdhsa_user_sgpr_dispatch_ptr 0
		.amdhsa_user_sgpr_queue_ptr 0
		.amdhsa_user_sgpr_kernarg_segment_ptr 1
		.amdhsa_user_sgpr_dispatch_id 0
		.amdhsa_user_sgpr_flat_scratch_init 0
		.amdhsa_user_sgpr_private_segment_size 0
		.amdhsa_uses_dynamic_stack 0
		.amdhsa_system_sgpr_private_segment_wavefront_offset 0
		.amdhsa_system_sgpr_workgroup_id_x 1
		.amdhsa_system_sgpr_workgroup_id_y 1
		.amdhsa_system_sgpr_workgroup_id_z 1
		.amdhsa_system_sgpr_workgroup_info 0
		.amdhsa_system_vgpr_workitem_id 1
		.amdhsa_next_free_vgpr 7
		.amdhsa_next_free_sgpr 11
		.amdhsa_reserve_vcc 1
		.amdhsa_reserve_flat_scratch 0
		.amdhsa_float_round_mode_32 0
		.amdhsa_float_round_mode_16_64 0
		.amdhsa_float_denorm_mode_32 3
		.amdhsa_float_denorm_mode_16_64 3
		.amdhsa_dx10_clamp 1
		.amdhsa_ieee_mode 1
		.amdhsa_fp16_overflow 0
		.amdhsa_exception_fp_ieee_invalid_op 0
		.amdhsa_exception_fp_denorm_src 0
		.amdhsa_exception_fp_ieee_div_zero 0
		.amdhsa_exception_fp_ieee_overflow 0
		.amdhsa_exception_fp_ieee_underflow 0
		.amdhsa_exception_fp_ieee_inexact 0
		.amdhsa_exception_int_div_zero 0
	.end_amdhsa_kernel
	.section	.text._ZL40rocblas_copy_triangular_syrk_herk_kernelILb1ELb0ELb1E19rocblas_complex_numIfEPKPS1_Li16ELi16EEviT3_ilPT2_i,"axG",@progbits,_ZL40rocblas_copy_triangular_syrk_herk_kernelILb1ELb0ELb1E19rocblas_complex_numIfEPKPS1_Li16ELi16EEviT3_ilPT2_i,comdat
.Lfunc_end41:
	.size	_ZL40rocblas_copy_triangular_syrk_herk_kernelILb1ELb0ELb1E19rocblas_complex_numIfEPKPS1_Li16ELi16EEviT3_ilPT2_i, .Lfunc_end41-_ZL40rocblas_copy_triangular_syrk_herk_kernelILb1ELb0ELb1E19rocblas_complex_numIfEPKPS1_Li16ELi16EEviT3_ilPT2_i
                                        ; -- End function
	.set _ZL40rocblas_copy_triangular_syrk_herk_kernelILb1ELb0ELb1E19rocblas_complex_numIfEPKPS1_Li16ELi16EEviT3_ilPT2_i.num_vgpr, 7
	.set _ZL40rocblas_copy_triangular_syrk_herk_kernelILb1ELb0ELb1E19rocblas_complex_numIfEPKPS1_Li16ELi16EEviT3_ilPT2_i.num_agpr, 0
	.set _ZL40rocblas_copy_triangular_syrk_herk_kernelILb1ELb0ELb1E19rocblas_complex_numIfEPKPS1_Li16ELi16EEviT3_ilPT2_i.numbered_sgpr, 11
	.set _ZL40rocblas_copy_triangular_syrk_herk_kernelILb1ELb0ELb1E19rocblas_complex_numIfEPKPS1_Li16ELi16EEviT3_ilPT2_i.num_named_barrier, 0
	.set _ZL40rocblas_copy_triangular_syrk_herk_kernelILb1ELb0ELb1E19rocblas_complex_numIfEPKPS1_Li16ELi16EEviT3_ilPT2_i.private_seg_size, 0
	.set _ZL40rocblas_copy_triangular_syrk_herk_kernelILb1ELb0ELb1E19rocblas_complex_numIfEPKPS1_Li16ELi16EEviT3_ilPT2_i.uses_vcc, 1
	.set _ZL40rocblas_copy_triangular_syrk_herk_kernelILb1ELb0ELb1E19rocblas_complex_numIfEPKPS1_Li16ELi16EEviT3_ilPT2_i.uses_flat_scratch, 0
	.set _ZL40rocblas_copy_triangular_syrk_herk_kernelILb1ELb0ELb1E19rocblas_complex_numIfEPKPS1_Li16ELi16EEviT3_ilPT2_i.has_dyn_sized_stack, 0
	.set _ZL40rocblas_copy_triangular_syrk_herk_kernelILb1ELb0ELb1E19rocblas_complex_numIfEPKPS1_Li16ELi16EEviT3_ilPT2_i.has_recursion, 0
	.set _ZL40rocblas_copy_triangular_syrk_herk_kernelILb1ELb0ELb1E19rocblas_complex_numIfEPKPS1_Li16ELi16EEviT3_ilPT2_i.has_indirect_call, 0
	.section	.AMDGPU.csdata,"",@progbits
; Kernel info:
; codeLenInByte = 324
; TotalNumSgprs: 15
; NumVgprs: 7
; ScratchSize: 0
; MemoryBound: 0
; FloatMode: 240
; IeeeMode: 1
; LDSByteSize: 0 bytes/workgroup (compile time only)
; SGPRBlocks: 1
; VGPRBlocks: 1
; NumSGPRsForWavesPerEU: 15
; NumVGPRsForWavesPerEU: 7
; Occupancy: 10
; WaveLimiterHint : 1
; COMPUTE_PGM_RSRC2:SCRATCH_EN: 0
; COMPUTE_PGM_RSRC2:USER_SGPR: 6
; COMPUTE_PGM_RSRC2:TRAP_HANDLER: 0
; COMPUTE_PGM_RSRC2:TGID_X_EN: 1
; COMPUTE_PGM_RSRC2:TGID_Y_EN: 1
; COMPUTE_PGM_RSRC2:TGID_Z_EN: 1
; COMPUTE_PGM_RSRC2:TIDIG_COMP_CNT: 1
	.section	.text._ZL40rocblas_copy_triangular_syrk_herk_kernelILb0ELb1ELb1E19rocblas_complex_numIfEPKPS1_Li16ELi16EEviT3_ilPT2_i,"axG",@progbits,_ZL40rocblas_copy_triangular_syrk_herk_kernelILb0ELb1ELb1E19rocblas_complex_numIfEPKPS1_Li16ELi16EEviT3_ilPT2_i,comdat
	.globl	_ZL40rocblas_copy_triangular_syrk_herk_kernelILb0ELb1ELb1E19rocblas_complex_numIfEPKPS1_Li16ELi16EEviT3_ilPT2_i ; -- Begin function _ZL40rocblas_copy_triangular_syrk_herk_kernelILb0ELb1ELb1E19rocblas_complex_numIfEPKPS1_Li16ELi16EEviT3_ilPT2_i
	.p2align	8
	.type	_ZL40rocblas_copy_triangular_syrk_herk_kernelILb0ELb1ELb1E19rocblas_complex_numIfEPKPS1_Li16ELi16EEviT3_ilPT2_i,@function
_ZL40rocblas_copy_triangular_syrk_herk_kernelILb0ELb1ELb1E19rocblas_complex_numIfEPKPS1_Li16ELi16EEviT3_ilPT2_i: ; @_ZL40rocblas_copy_triangular_syrk_herk_kernelILb0ELb1ELb1E19rocblas_complex_numIfEPKPS1_Li16ELi16EEviT3_ilPT2_i
; %bb.0:
	s_load_dword s13, s[4:5], 0x0
	s_load_dwordx2 s[0:1], s[4:5], 0x8
	s_load_dword s12, s[4:5], 0x10
	s_load_dword s14, s[4:5], 0x3c
	s_mov_b32 s9, 0
	s_lshl_b64 s[2:3], s[8:9], 3
	s_waitcnt lgkmcnt(0)
	s_add_u32 s0, s0, s2
	s_addc_u32 s1, s1, s3
	s_load_dwordx2 s[10:11], s[0:1], 0x0
	s_lshr_b32 s0, s14, 16
	s_mul_i32 s7, s7, s0
	s_and_b32 s0, s14, 0xffff
	s_mul_i32 s6, s6, s0
	v_add_u32_e32 v1, s7, v1
	v_add_u32_e32 v0, s6, v0
	v_cmp_gt_i32_e32 vcc, s13, v1
	v_cmp_gt_i32_e64 s[0:1], s13, v0
	v_cmp_gt_i32_e64 s[2:3], v1, v0
	s_and_b64 s[0:1], s[0:1], vcc
	s_and_b64 s[0:1], s[0:1], s[2:3]
	v_ashrrev_i32_e32 v2, 31, v1
	s_and_saveexec_b64 s[2:3], s[0:1]
	s_cbranch_execz .LBB42_2
; %bb.1:
	v_add_u32_e32 v3, -1, v1
	s_load_dwordx2 s[0:1], s[4:5], 0x20
	s_add_i32 s4, s13, -1
	v_mul_lo_u32 v3, v3, v1
	s_mul_hi_i32 s5, s4, s13
	s_mul_i32 s4, s4, s13
	s_lshr_b32 s6, s5, 31
	s_add_u32 s4, s4, s6
	s_addc_u32 s5, s5, 0
	v_lshrrev_b32_e32 v4, 31, v3
	s_ashr_i64 s[4:5], s[4:5], 1
	v_add_u32_e32 v3, v3, v4
	s_mul_i32 s5, s5, s8
	s_mul_hi_u32 s6, s4, s8
	v_ashrrev_i32_e32 v3, 1, v3
	s_add_i32 s5, s6, s5
	s_mul_i32 s4, s4, s8
	v_add_u32_e32 v3, v3, v0
	s_lshl_b64 s[4:5], s[4:5], 3
	v_ashrrev_i32_e32 v4, 31, v3
	s_waitcnt lgkmcnt(0)
	s_add_u32 s0, s0, s4
	v_lshlrev_b64 v[3:4], 3, v[3:4]
	s_addc_u32 s1, s1, s5
	v_mov_b32_e32 v5, s1
	v_add_co_u32_e64 v3, s[0:1], s0, v3
	v_addc_co_u32_e64 v4, s[0:1], v5, v4, s[0:1]
	global_load_dwordx2 v[3:4], v[3:4], off
	v_mad_i64_i32 v[5:6], s[0:1], v0, s12, 0
	v_mov_b32_e32 v7, s11
	v_lshlrev_b64 v[5:6], 3, v[5:6]
	v_add_co_u32_e64 v8, s[0:1], s10, v5
	v_addc_co_u32_e64 v7, s[0:1], v7, v6, s[0:1]
	v_lshlrev_b64 v[5:6], 3, v[1:2]
	v_add_co_u32_e64 v5, s[0:1], v8, v5
	v_addc_co_u32_e64 v6, s[0:1], v7, v6, s[0:1]
	s_waitcnt vmcnt(0)
	flat_store_dwordx2 v[5:6], v[3:4]
.LBB42_2:
	s_or_b64 exec, exec, s[2:3]
	v_cmp_eq_u32_e64 s[0:1], v1, v0
	s_and_b64 s[0:1], vcc, s[0:1]
	s_and_saveexec_b64 s[2:3], s[0:1]
	s_cbranch_execz .LBB42_4
; %bb.3:
	v_mad_i64_i32 v[0:1], s[0:1], v1, s12, v[1:2]
	s_waitcnt lgkmcnt(0)
	v_mov_b32_e32 v2, s11
	v_lshlrev_b64 v[0:1], 3, v[0:1]
	v_add_co_u32_e32 v0, vcc, s10, v0
	v_addc_co_u32_e32 v1, vcc, v2, v1, vcc
	v_mov_b32_e32 v2, 0
	flat_store_dword v[0:1], v2 offset:4
.LBB42_4:
	s_endpgm
	.section	.rodata,"a",@progbits
	.p2align	6, 0x0
	.amdhsa_kernel _ZL40rocblas_copy_triangular_syrk_herk_kernelILb0ELb1ELb1E19rocblas_complex_numIfEPKPS1_Li16ELi16EEviT3_ilPT2_i
		.amdhsa_group_segment_fixed_size 0
		.amdhsa_private_segment_fixed_size 0
		.amdhsa_kernarg_size 304
		.amdhsa_user_sgpr_count 6
		.amdhsa_user_sgpr_private_segment_buffer 1
		.amdhsa_user_sgpr_dispatch_ptr 0
		.amdhsa_user_sgpr_queue_ptr 0
		.amdhsa_user_sgpr_kernarg_segment_ptr 1
		.amdhsa_user_sgpr_dispatch_id 0
		.amdhsa_user_sgpr_flat_scratch_init 0
		.amdhsa_user_sgpr_private_segment_size 0
		.amdhsa_uses_dynamic_stack 0
		.amdhsa_system_sgpr_private_segment_wavefront_offset 0
		.amdhsa_system_sgpr_workgroup_id_x 1
		.amdhsa_system_sgpr_workgroup_id_y 1
		.amdhsa_system_sgpr_workgroup_id_z 1
		.amdhsa_system_sgpr_workgroup_info 0
		.amdhsa_system_vgpr_workitem_id 1
		.amdhsa_next_free_vgpr 9
		.amdhsa_next_free_sgpr 15
		.amdhsa_reserve_vcc 1
		.amdhsa_reserve_flat_scratch 0
		.amdhsa_float_round_mode_32 0
		.amdhsa_float_round_mode_16_64 0
		.amdhsa_float_denorm_mode_32 3
		.amdhsa_float_denorm_mode_16_64 3
		.amdhsa_dx10_clamp 1
		.amdhsa_ieee_mode 1
		.amdhsa_fp16_overflow 0
		.amdhsa_exception_fp_ieee_invalid_op 0
		.amdhsa_exception_fp_denorm_src 0
		.amdhsa_exception_fp_ieee_div_zero 0
		.amdhsa_exception_fp_ieee_overflow 0
		.amdhsa_exception_fp_ieee_underflow 0
		.amdhsa_exception_fp_ieee_inexact 0
		.amdhsa_exception_int_div_zero 0
	.end_amdhsa_kernel
	.section	.text._ZL40rocblas_copy_triangular_syrk_herk_kernelILb0ELb1ELb1E19rocblas_complex_numIfEPKPS1_Li16ELi16EEviT3_ilPT2_i,"axG",@progbits,_ZL40rocblas_copy_triangular_syrk_herk_kernelILb0ELb1ELb1E19rocblas_complex_numIfEPKPS1_Li16ELi16EEviT3_ilPT2_i,comdat
.Lfunc_end42:
	.size	_ZL40rocblas_copy_triangular_syrk_herk_kernelILb0ELb1ELb1E19rocblas_complex_numIfEPKPS1_Li16ELi16EEviT3_ilPT2_i, .Lfunc_end42-_ZL40rocblas_copy_triangular_syrk_herk_kernelILb0ELb1ELb1E19rocblas_complex_numIfEPKPS1_Li16ELi16EEviT3_ilPT2_i
                                        ; -- End function
	.set _ZL40rocblas_copy_triangular_syrk_herk_kernelILb0ELb1ELb1E19rocblas_complex_numIfEPKPS1_Li16ELi16EEviT3_ilPT2_i.num_vgpr, 9
	.set _ZL40rocblas_copy_triangular_syrk_herk_kernelILb0ELb1ELb1E19rocblas_complex_numIfEPKPS1_Li16ELi16EEviT3_ilPT2_i.num_agpr, 0
	.set _ZL40rocblas_copy_triangular_syrk_herk_kernelILb0ELb1ELb1E19rocblas_complex_numIfEPKPS1_Li16ELi16EEviT3_ilPT2_i.numbered_sgpr, 15
	.set _ZL40rocblas_copy_triangular_syrk_herk_kernelILb0ELb1ELb1E19rocblas_complex_numIfEPKPS1_Li16ELi16EEviT3_ilPT2_i.num_named_barrier, 0
	.set _ZL40rocblas_copy_triangular_syrk_herk_kernelILb0ELb1ELb1E19rocblas_complex_numIfEPKPS1_Li16ELi16EEviT3_ilPT2_i.private_seg_size, 0
	.set _ZL40rocblas_copy_triangular_syrk_herk_kernelILb0ELb1ELb1E19rocblas_complex_numIfEPKPS1_Li16ELi16EEviT3_ilPT2_i.uses_vcc, 1
	.set _ZL40rocblas_copy_triangular_syrk_herk_kernelILb0ELb1ELb1E19rocblas_complex_numIfEPKPS1_Li16ELi16EEviT3_ilPT2_i.uses_flat_scratch, 0
	.set _ZL40rocblas_copy_triangular_syrk_herk_kernelILb0ELb1ELb1E19rocblas_complex_numIfEPKPS1_Li16ELi16EEviT3_ilPT2_i.has_dyn_sized_stack, 0
	.set _ZL40rocblas_copy_triangular_syrk_herk_kernelILb0ELb1ELb1E19rocblas_complex_numIfEPKPS1_Li16ELi16EEviT3_ilPT2_i.has_recursion, 0
	.set _ZL40rocblas_copy_triangular_syrk_herk_kernelILb0ELb1ELb1E19rocblas_complex_numIfEPKPS1_Li16ELi16EEviT3_ilPT2_i.has_indirect_call, 0
	.section	.AMDGPU.csdata,"",@progbits
; Kernel info:
; codeLenInByte = 408
; TotalNumSgprs: 19
; NumVgprs: 9
; ScratchSize: 0
; MemoryBound: 0
; FloatMode: 240
; IeeeMode: 1
; LDSByteSize: 0 bytes/workgroup (compile time only)
; SGPRBlocks: 2
; VGPRBlocks: 2
; NumSGPRsForWavesPerEU: 19
; NumVGPRsForWavesPerEU: 9
; Occupancy: 10
; WaveLimiterHint : 1
; COMPUTE_PGM_RSRC2:SCRATCH_EN: 0
; COMPUTE_PGM_RSRC2:USER_SGPR: 6
; COMPUTE_PGM_RSRC2:TRAP_HANDLER: 0
; COMPUTE_PGM_RSRC2:TGID_X_EN: 1
; COMPUTE_PGM_RSRC2:TGID_Y_EN: 1
; COMPUTE_PGM_RSRC2:TGID_Z_EN: 1
; COMPUTE_PGM_RSRC2:TIDIG_COMP_CNT: 1
	.section	.text._ZL40rocblas_copy_triangular_syrk_herk_kernelILb0ELb0ELb1E19rocblas_complex_numIfEPKPS1_Li16ELi16EEviT3_ilPT2_i,"axG",@progbits,_ZL40rocblas_copy_triangular_syrk_herk_kernelILb0ELb0ELb1E19rocblas_complex_numIfEPKPS1_Li16ELi16EEviT3_ilPT2_i,comdat
	.globl	_ZL40rocblas_copy_triangular_syrk_herk_kernelILb0ELb0ELb1E19rocblas_complex_numIfEPKPS1_Li16ELi16EEviT3_ilPT2_i ; -- Begin function _ZL40rocblas_copy_triangular_syrk_herk_kernelILb0ELb0ELb1E19rocblas_complex_numIfEPKPS1_Li16ELi16EEviT3_ilPT2_i
	.p2align	8
	.type	_ZL40rocblas_copy_triangular_syrk_herk_kernelILb0ELb0ELb1E19rocblas_complex_numIfEPKPS1_Li16ELi16EEviT3_ilPT2_i,@function
_ZL40rocblas_copy_triangular_syrk_herk_kernelILb0ELb0ELb1E19rocblas_complex_numIfEPKPS1_Li16ELi16EEviT3_ilPT2_i: ; @_ZL40rocblas_copy_triangular_syrk_herk_kernelILb0ELb0ELb1E19rocblas_complex_numIfEPKPS1_Li16ELi16EEviT3_ilPT2_i
; %bb.0:
	s_load_dword s11, s[4:5], 0x0
	s_load_dwordx2 s[0:1], s[4:5], 0x8
	s_load_dword s10, s[4:5], 0x10
	s_load_dword s12, s[4:5], 0x3c
	s_mov_b32 s9, 0
	s_lshl_b64 s[2:3], s[8:9], 3
	s_waitcnt lgkmcnt(0)
	s_add_u32 s0, s0, s2
	s_addc_u32 s1, s1, s3
	s_load_dwordx2 s[2:3], s[0:1], 0x0
	s_lshr_b32 s0, s12, 16
	s_mul_i32 s7, s7, s0
	s_and_b32 s0, s12, 0xffff
	s_mul_i32 s6, s6, s0
	v_add_u32_e32 v1, s7, v1
	v_add_u32_e32 v0, s6, v0
	v_cmp_gt_i32_e32 vcc, s11, v0
	v_cmp_lt_i32_e64 s[0:1], v1, v0
	s_and_b64 s[6:7], vcc, s[0:1]
	v_ashrrev_i32_e32 v2, 31, v1
	s_and_saveexec_b64 s[0:1], s[6:7]
	s_cbranch_execz .LBB43_2
; %bb.1:
	v_not_b32_e32 v3, v1
	v_lshl_add_u32 v4, s11, 1, v3
	s_add_i32 s6, s11, -1
	v_mul_lo_u32 v4, v4, v1
	s_mul_hi_i32 s7, s6, s11
	s_mul_i32 s6, s6, s11
	s_lshr_b32 s9, s7, 31
	s_add_u32 s6, s6, s9
	s_load_dwordx2 s[4:5], s[4:5], 0x20
	s_addc_u32 s7, s7, 0
	v_lshrrev_b32_e32 v5, 31, v4
	s_ashr_i64 s[6:7], s[6:7], 1
	v_add_u32_e32 v4, v4, v5
	s_mul_i32 s7, s7, s8
	s_mul_hi_u32 s9, s6, s8
	v_ashrrev_i32_e32 v4, 1, v4
	s_add_i32 s7, s9, s7
	s_mul_i32 s6, s6, s8
	v_add3_u32 v3, v0, v3, v4
	s_lshl_b64 s[6:7], s[6:7], 3
	v_ashrrev_i32_e32 v4, 31, v3
	s_waitcnt lgkmcnt(0)
	s_add_u32 s4, s4, s6
	v_lshlrev_b64 v[3:4], 3, v[3:4]
	s_addc_u32 s5, s5, s7
	v_mov_b32_e32 v5, s5
	v_add_co_u32_e32 v3, vcc, s4, v3
	v_addc_co_u32_e32 v4, vcc, v5, v4, vcc
	global_load_dwordx2 v[3:4], v[3:4], off
	v_mad_i64_i32 v[5:6], s[4:5], v0, s10, 0
	v_mov_b32_e32 v7, s3
	v_lshlrev_b64 v[5:6], 3, v[5:6]
	v_add_co_u32_e32 v8, vcc, s2, v5
	v_addc_co_u32_e32 v7, vcc, v7, v6, vcc
	v_lshlrev_b64 v[5:6], 3, v[1:2]
	v_add_co_u32_e32 v5, vcc, v8, v5
	v_addc_co_u32_e32 v6, vcc, v7, v6, vcc
	s_waitcnt vmcnt(0)
	flat_store_dwordx2 v[5:6], v[3:4]
.LBB43_2:
	s_or_b64 exec, exec, s[0:1]
	v_cmp_gt_i32_e32 vcc, s11, v1
	v_cmp_eq_u32_e64 s[0:1], v1, v0
	s_and_b64 s[0:1], vcc, s[0:1]
	s_and_saveexec_b64 s[4:5], s[0:1]
	s_cbranch_execz .LBB43_4
; %bb.3:
	v_mad_i64_i32 v[0:1], s[0:1], v1, s10, v[1:2]
	s_waitcnt lgkmcnt(0)
	v_mov_b32_e32 v2, s3
	v_lshlrev_b64 v[0:1], 3, v[0:1]
	v_add_co_u32_e32 v0, vcc, s2, v0
	v_addc_co_u32_e32 v1, vcc, v2, v1, vcc
	v_mov_b32_e32 v2, 0
	flat_store_dword v[0:1], v2 offset:4
.LBB43_4:
	s_endpgm
	.section	.rodata,"a",@progbits
	.p2align	6, 0x0
	.amdhsa_kernel _ZL40rocblas_copy_triangular_syrk_herk_kernelILb0ELb0ELb1E19rocblas_complex_numIfEPKPS1_Li16ELi16EEviT3_ilPT2_i
		.amdhsa_group_segment_fixed_size 0
		.amdhsa_private_segment_fixed_size 0
		.amdhsa_kernarg_size 304
		.amdhsa_user_sgpr_count 6
		.amdhsa_user_sgpr_private_segment_buffer 1
		.amdhsa_user_sgpr_dispatch_ptr 0
		.amdhsa_user_sgpr_queue_ptr 0
		.amdhsa_user_sgpr_kernarg_segment_ptr 1
		.amdhsa_user_sgpr_dispatch_id 0
		.amdhsa_user_sgpr_flat_scratch_init 0
		.amdhsa_user_sgpr_private_segment_size 0
		.amdhsa_uses_dynamic_stack 0
		.amdhsa_system_sgpr_private_segment_wavefront_offset 0
		.amdhsa_system_sgpr_workgroup_id_x 1
		.amdhsa_system_sgpr_workgroup_id_y 1
		.amdhsa_system_sgpr_workgroup_id_z 1
		.amdhsa_system_sgpr_workgroup_info 0
		.amdhsa_system_vgpr_workitem_id 1
		.amdhsa_next_free_vgpr 9
		.amdhsa_next_free_sgpr 13
		.amdhsa_reserve_vcc 1
		.amdhsa_reserve_flat_scratch 0
		.amdhsa_float_round_mode_32 0
		.amdhsa_float_round_mode_16_64 0
		.amdhsa_float_denorm_mode_32 3
		.amdhsa_float_denorm_mode_16_64 3
		.amdhsa_dx10_clamp 1
		.amdhsa_ieee_mode 1
		.amdhsa_fp16_overflow 0
		.amdhsa_exception_fp_ieee_invalid_op 0
		.amdhsa_exception_fp_denorm_src 0
		.amdhsa_exception_fp_ieee_div_zero 0
		.amdhsa_exception_fp_ieee_overflow 0
		.amdhsa_exception_fp_ieee_underflow 0
		.amdhsa_exception_fp_ieee_inexact 0
		.amdhsa_exception_int_div_zero 0
	.end_amdhsa_kernel
	.section	.text._ZL40rocblas_copy_triangular_syrk_herk_kernelILb0ELb0ELb1E19rocblas_complex_numIfEPKPS1_Li16ELi16EEviT3_ilPT2_i,"axG",@progbits,_ZL40rocblas_copy_triangular_syrk_herk_kernelILb0ELb0ELb1E19rocblas_complex_numIfEPKPS1_Li16ELi16EEviT3_ilPT2_i,comdat
.Lfunc_end43:
	.size	_ZL40rocblas_copy_triangular_syrk_herk_kernelILb0ELb0ELb1E19rocblas_complex_numIfEPKPS1_Li16ELi16EEviT3_ilPT2_i, .Lfunc_end43-_ZL40rocblas_copy_triangular_syrk_herk_kernelILb0ELb0ELb1E19rocblas_complex_numIfEPKPS1_Li16ELi16EEviT3_ilPT2_i
                                        ; -- End function
	.set _ZL40rocblas_copy_triangular_syrk_herk_kernelILb0ELb0ELb1E19rocblas_complex_numIfEPKPS1_Li16ELi16EEviT3_ilPT2_i.num_vgpr, 9
	.set _ZL40rocblas_copy_triangular_syrk_herk_kernelILb0ELb0ELb1E19rocblas_complex_numIfEPKPS1_Li16ELi16EEviT3_ilPT2_i.num_agpr, 0
	.set _ZL40rocblas_copy_triangular_syrk_herk_kernelILb0ELb0ELb1E19rocblas_complex_numIfEPKPS1_Li16ELi16EEviT3_ilPT2_i.numbered_sgpr, 13
	.set _ZL40rocblas_copy_triangular_syrk_herk_kernelILb0ELb0ELb1E19rocblas_complex_numIfEPKPS1_Li16ELi16EEviT3_ilPT2_i.num_named_barrier, 0
	.set _ZL40rocblas_copy_triangular_syrk_herk_kernelILb0ELb0ELb1E19rocblas_complex_numIfEPKPS1_Li16ELi16EEviT3_ilPT2_i.private_seg_size, 0
	.set _ZL40rocblas_copy_triangular_syrk_herk_kernelILb0ELb0ELb1E19rocblas_complex_numIfEPKPS1_Li16ELi16EEviT3_ilPT2_i.uses_vcc, 1
	.set _ZL40rocblas_copy_triangular_syrk_herk_kernelILb0ELb0ELb1E19rocblas_complex_numIfEPKPS1_Li16ELi16EEviT3_ilPT2_i.uses_flat_scratch, 0
	.set _ZL40rocblas_copy_triangular_syrk_herk_kernelILb0ELb0ELb1E19rocblas_complex_numIfEPKPS1_Li16ELi16EEviT3_ilPT2_i.has_dyn_sized_stack, 0
	.set _ZL40rocblas_copy_triangular_syrk_herk_kernelILb0ELb0ELb1E19rocblas_complex_numIfEPKPS1_Li16ELi16EEviT3_ilPT2_i.has_recursion, 0
	.set _ZL40rocblas_copy_triangular_syrk_herk_kernelILb0ELb0ELb1E19rocblas_complex_numIfEPKPS1_Li16ELi16EEviT3_ilPT2_i.has_indirect_call, 0
	.section	.AMDGPU.csdata,"",@progbits
; Kernel info:
; codeLenInByte = 388
; TotalNumSgprs: 17
; NumVgprs: 9
; ScratchSize: 0
; MemoryBound: 0
; FloatMode: 240
; IeeeMode: 1
; LDSByteSize: 0 bytes/workgroup (compile time only)
; SGPRBlocks: 2
; VGPRBlocks: 2
; NumSGPRsForWavesPerEU: 17
; NumVGPRsForWavesPerEU: 9
; Occupancy: 10
; WaveLimiterHint : 1
; COMPUTE_PGM_RSRC2:SCRATCH_EN: 0
; COMPUTE_PGM_RSRC2:USER_SGPR: 6
; COMPUTE_PGM_RSRC2:TRAP_HANDLER: 0
; COMPUTE_PGM_RSRC2:TGID_X_EN: 1
; COMPUTE_PGM_RSRC2:TGID_Y_EN: 1
; COMPUTE_PGM_RSRC2:TGID_Z_EN: 1
; COMPUTE_PGM_RSRC2:TIDIG_COMP_CNT: 1
	.section	.text._ZL40rocblas_copy_triangular_syrk_herk_kernelILb1ELb1ELb1E19rocblas_complex_numIdEPKPS1_Li16ELi16EEviT3_ilPT2_i,"axG",@progbits,_ZL40rocblas_copy_triangular_syrk_herk_kernelILb1ELb1ELb1E19rocblas_complex_numIdEPKPS1_Li16ELi16EEviT3_ilPT2_i,comdat
	.globl	_ZL40rocblas_copy_triangular_syrk_herk_kernelILb1ELb1ELb1E19rocblas_complex_numIdEPKPS1_Li16ELi16EEviT3_ilPT2_i ; -- Begin function _ZL40rocblas_copy_triangular_syrk_herk_kernelILb1ELb1ELb1E19rocblas_complex_numIdEPKPS1_Li16ELi16EEviT3_ilPT2_i
	.p2align	8
	.type	_ZL40rocblas_copy_triangular_syrk_herk_kernelILb1ELb1ELb1E19rocblas_complex_numIdEPKPS1_Li16ELi16EEviT3_ilPT2_i,@function
_ZL40rocblas_copy_triangular_syrk_herk_kernelILb1ELb1ELb1E19rocblas_complex_numIdEPKPS1_Li16ELi16EEviT3_ilPT2_i: ; @_ZL40rocblas_copy_triangular_syrk_herk_kernelILb1ELb1ELb1E19rocblas_complex_numIdEPKPS1_Li16ELi16EEviT3_ilPT2_i
; %bb.0:
	s_load_dword s0, s[4:5], 0x3c
	s_load_dword s2, s[4:5], 0x0
	s_waitcnt lgkmcnt(0)
	s_lshr_b32 s1, s0, 16
	s_and_b32 s0, s0, 0xffff
	s_mul_i32 s7, s7, s1
	s_mul_i32 s6, s6, s0
	v_add_u32_e32 v1, s7, v1
	v_add_u32_e32 v0, s6, v0
	v_max_i32_e32 v2, v1, v0
	v_cmp_gt_i32_e32 vcc, s2, v2
	v_cmp_gt_i32_e64 s[0:1], v1, v0
	s_and_b64 s[0:1], s[0:1], vcc
	s_and_saveexec_b64 s[6:7], s[0:1]
	s_cbranch_execz .LBB44_2
; %bb.1:
	s_add_i32 s3, s2, -1
	s_load_dwordx2 s[0:1], s[4:5], 0x8
	s_load_dword s10, s[4:5], 0x10
	s_load_dwordx2 s[6:7], s[4:5], 0x20
	s_mul_hi_i32 s4, s3, s2
	s_mul_i32 s3, s3, s2
	s_lshr_b32 s2, s4, 31
	s_add_u32 s2, s3, s2
	s_addc_u32 s3, s4, 0
	s_ashr_i64 s[2:3], s[2:3], 1
	s_mul_i32 s3, s3, s8
	s_mul_hi_u32 s4, s2, s8
	s_add_i32 s3, s4, s3
	s_mul_i32 s2, s2, s8
	s_lshl_b64 s[2:3], s[2:3], 4
	s_mov_b32 s9, 0
	s_waitcnt lgkmcnt(0)
	s_add_u32 s4, s6, s2
	s_addc_u32 s5, s7, s3
	s_lshl_b64 s[2:3], s[8:9], 3
	s_add_u32 s0, s0, s2
	s_addc_u32 s1, s1, s3
	v_mad_i64_i32 v[3:4], s[2:3], v0, s10, 0
	s_load_dwordx2 s[0:1], s[0:1], 0x0
	v_ashrrev_i32_e32 v2, 31, v1
	v_lshlrev_b64 v[3:4], 4, v[3:4]
	s_waitcnt lgkmcnt(0)
	v_mov_b32_e32 v5, s1
	v_add_co_u32_e32 v6, vcc, s0, v3
	v_lshlrev_b64 v[2:3], 4, v[1:2]
	v_addc_co_u32_e32 v4, vcc, v5, v4, vcc
	v_add_co_u32_e32 v2, vcc, v6, v2
	v_addc_co_u32_e32 v3, vcc, v4, v3, vcc
	flat_load_dwordx4 v[2:5], v[2:3]
	v_add_u32_e32 v6, -1, v1
	v_mul_lo_u32 v1, v6, v1
	v_lshrrev_b32_e32 v6, 31, v1
	v_add_u32_e32 v1, v1, v6
	v_ashrrev_i32_e32 v1, 1, v1
	v_add_u32_e32 v0, v1, v0
	v_ashrrev_i32_e32 v1, 31, v0
	v_lshlrev_b64 v[0:1], 4, v[0:1]
	v_mov_b32_e32 v6, s5
	v_add_co_u32_e32 v0, vcc, s4, v0
	v_addc_co_u32_e32 v1, vcc, v6, v1, vcc
	s_waitcnt vmcnt(0) lgkmcnt(0)
	global_store_dwordx4 v[0:1], v[2:5], off
.LBB44_2:
	s_endpgm
	.section	.rodata,"a",@progbits
	.p2align	6, 0x0
	.amdhsa_kernel _ZL40rocblas_copy_triangular_syrk_herk_kernelILb1ELb1ELb1E19rocblas_complex_numIdEPKPS1_Li16ELi16EEviT3_ilPT2_i
		.amdhsa_group_segment_fixed_size 0
		.amdhsa_private_segment_fixed_size 0
		.amdhsa_kernarg_size 304
		.amdhsa_user_sgpr_count 6
		.amdhsa_user_sgpr_private_segment_buffer 1
		.amdhsa_user_sgpr_dispatch_ptr 0
		.amdhsa_user_sgpr_queue_ptr 0
		.amdhsa_user_sgpr_kernarg_segment_ptr 1
		.amdhsa_user_sgpr_dispatch_id 0
		.amdhsa_user_sgpr_flat_scratch_init 0
		.amdhsa_user_sgpr_private_segment_size 0
		.amdhsa_uses_dynamic_stack 0
		.amdhsa_system_sgpr_private_segment_wavefront_offset 0
		.amdhsa_system_sgpr_workgroup_id_x 1
		.amdhsa_system_sgpr_workgroup_id_y 1
		.amdhsa_system_sgpr_workgroup_id_z 1
		.amdhsa_system_sgpr_workgroup_info 0
		.amdhsa_system_vgpr_workitem_id 1
		.amdhsa_next_free_vgpr 7
		.amdhsa_next_free_sgpr 11
		.amdhsa_reserve_vcc 1
		.amdhsa_reserve_flat_scratch 0
		.amdhsa_float_round_mode_32 0
		.amdhsa_float_round_mode_16_64 0
		.amdhsa_float_denorm_mode_32 3
		.amdhsa_float_denorm_mode_16_64 3
		.amdhsa_dx10_clamp 1
		.amdhsa_ieee_mode 1
		.amdhsa_fp16_overflow 0
		.amdhsa_exception_fp_ieee_invalid_op 0
		.amdhsa_exception_fp_denorm_src 0
		.amdhsa_exception_fp_ieee_div_zero 0
		.amdhsa_exception_fp_ieee_overflow 0
		.amdhsa_exception_fp_ieee_underflow 0
		.amdhsa_exception_fp_ieee_inexact 0
		.amdhsa_exception_int_div_zero 0
	.end_amdhsa_kernel
	.section	.text._ZL40rocblas_copy_triangular_syrk_herk_kernelILb1ELb1ELb1E19rocblas_complex_numIdEPKPS1_Li16ELi16EEviT3_ilPT2_i,"axG",@progbits,_ZL40rocblas_copy_triangular_syrk_herk_kernelILb1ELb1ELb1E19rocblas_complex_numIdEPKPS1_Li16ELi16EEviT3_ilPT2_i,comdat
.Lfunc_end44:
	.size	_ZL40rocblas_copy_triangular_syrk_herk_kernelILb1ELb1ELb1E19rocblas_complex_numIdEPKPS1_Li16ELi16EEviT3_ilPT2_i, .Lfunc_end44-_ZL40rocblas_copy_triangular_syrk_herk_kernelILb1ELb1ELb1E19rocblas_complex_numIdEPKPS1_Li16ELi16EEviT3_ilPT2_i
                                        ; -- End function
	.set _ZL40rocblas_copy_triangular_syrk_herk_kernelILb1ELb1ELb1E19rocblas_complex_numIdEPKPS1_Li16ELi16EEviT3_ilPT2_i.num_vgpr, 7
	.set _ZL40rocblas_copy_triangular_syrk_herk_kernelILb1ELb1ELb1E19rocblas_complex_numIdEPKPS1_Li16ELi16EEviT3_ilPT2_i.num_agpr, 0
	.set _ZL40rocblas_copy_triangular_syrk_herk_kernelILb1ELb1ELb1E19rocblas_complex_numIdEPKPS1_Li16ELi16EEviT3_ilPT2_i.numbered_sgpr, 11
	.set _ZL40rocblas_copy_triangular_syrk_herk_kernelILb1ELb1ELb1E19rocblas_complex_numIdEPKPS1_Li16ELi16EEviT3_ilPT2_i.num_named_barrier, 0
	.set _ZL40rocblas_copy_triangular_syrk_herk_kernelILb1ELb1ELb1E19rocblas_complex_numIdEPKPS1_Li16ELi16EEviT3_ilPT2_i.private_seg_size, 0
	.set _ZL40rocblas_copy_triangular_syrk_herk_kernelILb1ELb1ELb1E19rocblas_complex_numIdEPKPS1_Li16ELi16EEviT3_ilPT2_i.uses_vcc, 1
	.set _ZL40rocblas_copy_triangular_syrk_herk_kernelILb1ELb1ELb1E19rocblas_complex_numIdEPKPS1_Li16ELi16EEviT3_ilPT2_i.uses_flat_scratch, 0
	.set _ZL40rocblas_copy_triangular_syrk_herk_kernelILb1ELb1ELb1E19rocblas_complex_numIdEPKPS1_Li16ELi16EEviT3_ilPT2_i.has_dyn_sized_stack, 0
	.set _ZL40rocblas_copy_triangular_syrk_herk_kernelILb1ELb1ELb1E19rocblas_complex_numIdEPKPS1_Li16ELi16EEviT3_ilPT2_i.has_recursion, 0
	.set _ZL40rocblas_copy_triangular_syrk_herk_kernelILb1ELb1ELb1E19rocblas_complex_numIdEPKPS1_Li16ELi16EEviT3_ilPT2_i.has_indirect_call, 0
	.section	.AMDGPU.csdata,"",@progbits
; Kernel info:
; codeLenInByte = 312
; TotalNumSgprs: 15
; NumVgprs: 7
; ScratchSize: 0
; MemoryBound: 0
; FloatMode: 240
; IeeeMode: 1
; LDSByteSize: 0 bytes/workgroup (compile time only)
; SGPRBlocks: 1
; VGPRBlocks: 1
; NumSGPRsForWavesPerEU: 15
; NumVGPRsForWavesPerEU: 7
; Occupancy: 10
; WaveLimiterHint : 0
; COMPUTE_PGM_RSRC2:SCRATCH_EN: 0
; COMPUTE_PGM_RSRC2:USER_SGPR: 6
; COMPUTE_PGM_RSRC2:TRAP_HANDLER: 0
; COMPUTE_PGM_RSRC2:TGID_X_EN: 1
; COMPUTE_PGM_RSRC2:TGID_Y_EN: 1
; COMPUTE_PGM_RSRC2:TGID_Z_EN: 1
; COMPUTE_PGM_RSRC2:TIDIG_COMP_CNT: 1
	.section	.text._ZL40rocblas_copy_triangular_syrk_herk_kernelILb1ELb0ELb1E19rocblas_complex_numIdEPKPS1_Li16ELi16EEviT3_ilPT2_i,"axG",@progbits,_ZL40rocblas_copy_triangular_syrk_herk_kernelILb1ELb0ELb1E19rocblas_complex_numIdEPKPS1_Li16ELi16EEviT3_ilPT2_i,comdat
	.globl	_ZL40rocblas_copy_triangular_syrk_herk_kernelILb1ELb0ELb1E19rocblas_complex_numIdEPKPS1_Li16ELi16EEviT3_ilPT2_i ; -- Begin function _ZL40rocblas_copy_triangular_syrk_herk_kernelILb1ELb0ELb1E19rocblas_complex_numIdEPKPS1_Li16ELi16EEviT3_ilPT2_i
	.p2align	8
	.type	_ZL40rocblas_copy_triangular_syrk_herk_kernelILb1ELb0ELb1E19rocblas_complex_numIdEPKPS1_Li16ELi16EEviT3_ilPT2_i,@function
_ZL40rocblas_copy_triangular_syrk_herk_kernelILb1ELb0ELb1E19rocblas_complex_numIdEPKPS1_Li16ELi16EEviT3_ilPT2_i: ; @_ZL40rocblas_copy_triangular_syrk_herk_kernelILb1ELb0ELb1E19rocblas_complex_numIdEPKPS1_Li16ELi16EEviT3_ilPT2_i
; %bb.0:
	s_load_dword s0, s[4:5], 0x3c
	s_load_dword s2, s[4:5], 0x0
	s_waitcnt lgkmcnt(0)
	s_lshr_b32 s1, s0, 16
	s_and_b32 s0, s0, 0xffff
	s_mul_i32 s7, s7, s1
	s_mul_i32 s6, s6, s0
	v_add_u32_e32 v1, s7, v1
	v_add_u32_e32 v0, s6, v0
	v_max_i32_e32 v2, v1, v0
	v_cmp_gt_i32_e32 vcc, s2, v2
	v_cmp_lt_i32_e64 s[0:1], v1, v0
	s_and_b64 s[0:1], s[0:1], vcc
	s_and_saveexec_b64 s[6:7], s[0:1]
	s_cbranch_execz .LBB45_2
; %bb.1:
	s_load_dwordx2 s[0:1], s[4:5], 0x8
	s_load_dword s3, s[4:5], 0x10
	s_load_dwordx2 s[6:7], s[4:5], 0x20
	s_add_i32 s4, s2, -1
	s_mul_hi_i32 s5, s4, s2
	s_mul_i32 s4, s4, s2
	s_lshr_b32 s10, s5, 31
	s_add_u32 s4, s4, s10
	s_addc_u32 s5, s5, 0
	s_ashr_i64 s[4:5], s[4:5], 1
	s_mul_i32 s5, s5, s8
	s_mul_hi_u32 s10, s4, s8
	s_add_i32 s5, s10, s5
	s_mul_i32 s4, s4, s8
	s_lshl_b64 s[4:5], s[4:5], 4
	s_mov_b32 s9, 0
	s_waitcnt lgkmcnt(0)
	s_add_u32 s6, s6, s4
	s_addc_u32 s7, s7, s5
	s_lshl_b64 s[4:5], s[8:9], 3
	s_add_u32 s0, s0, s4
	s_addc_u32 s1, s1, s5
	v_mad_i64_i32 v[3:4], s[4:5], v0, s3, 0
	s_load_dwordx2 s[0:1], s[0:1], 0x0
	v_ashrrev_i32_e32 v2, 31, v1
	v_lshlrev_b64 v[3:4], 4, v[3:4]
	s_waitcnt lgkmcnt(0)
	v_mov_b32_e32 v5, s1
	v_add_co_u32_e32 v6, vcc, s0, v3
	v_lshlrev_b64 v[2:3], 4, v[1:2]
	v_addc_co_u32_e32 v4, vcc, v5, v4, vcc
	v_add_co_u32_e32 v2, vcc, v6, v2
	v_addc_co_u32_e32 v3, vcc, v4, v3, vcc
	flat_load_dwordx4 v[2:5], v[2:3]
	v_not_b32_e32 v6, v1
	v_lshl_add_u32 v7, s2, 1, v6
	v_mul_lo_u32 v1, v7, v1
	v_lshrrev_b32_e32 v7, 31, v1
	v_add_u32_e32 v1, v1, v7
	v_ashrrev_i32_e32 v1, 1, v1
	v_add3_u32 v0, v0, v6, v1
	v_ashrrev_i32_e32 v1, 31, v0
	v_lshlrev_b64 v[0:1], 4, v[0:1]
	v_mov_b32_e32 v6, s7
	v_add_co_u32_e32 v0, vcc, s6, v0
	v_addc_co_u32_e32 v1, vcc, v6, v1, vcc
	s_waitcnt vmcnt(0) lgkmcnt(0)
	global_store_dwordx4 v[0:1], v[2:5], off
.LBB45_2:
	s_endpgm
	.section	.rodata,"a",@progbits
	.p2align	6, 0x0
	.amdhsa_kernel _ZL40rocblas_copy_triangular_syrk_herk_kernelILb1ELb0ELb1E19rocblas_complex_numIdEPKPS1_Li16ELi16EEviT3_ilPT2_i
		.amdhsa_group_segment_fixed_size 0
		.amdhsa_private_segment_fixed_size 0
		.amdhsa_kernarg_size 304
		.amdhsa_user_sgpr_count 6
		.amdhsa_user_sgpr_private_segment_buffer 1
		.amdhsa_user_sgpr_dispatch_ptr 0
		.amdhsa_user_sgpr_queue_ptr 0
		.amdhsa_user_sgpr_kernarg_segment_ptr 1
		.amdhsa_user_sgpr_dispatch_id 0
		.amdhsa_user_sgpr_flat_scratch_init 0
		.amdhsa_user_sgpr_private_segment_size 0
		.amdhsa_uses_dynamic_stack 0
		.amdhsa_system_sgpr_private_segment_wavefront_offset 0
		.amdhsa_system_sgpr_workgroup_id_x 1
		.amdhsa_system_sgpr_workgroup_id_y 1
		.amdhsa_system_sgpr_workgroup_id_z 1
		.amdhsa_system_sgpr_workgroup_info 0
		.amdhsa_system_vgpr_workitem_id 1
		.amdhsa_next_free_vgpr 8
		.amdhsa_next_free_sgpr 11
		.amdhsa_reserve_vcc 1
		.amdhsa_reserve_flat_scratch 0
		.amdhsa_float_round_mode_32 0
		.amdhsa_float_round_mode_16_64 0
		.amdhsa_float_denorm_mode_32 3
		.amdhsa_float_denorm_mode_16_64 3
		.amdhsa_dx10_clamp 1
		.amdhsa_ieee_mode 1
		.amdhsa_fp16_overflow 0
		.amdhsa_exception_fp_ieee_invalid_op 0
		.amdhsa_exception_fp_denorm_src 0
		.amdhsa_exception_fp_ieee_div_zero 0
		.amdhsa_exception_fp_ieee_overflow 0
		.amdhsa_exception_fp_ieee_underflow 0
		.amdhsa_exception_fp_ieee_inexact 0
		.amdhsa_exception_int_div_zero 0
	.end_amdhsa_kernel
	.section	.text._ZL40rocblas_copy_triangular_syrk_herk_kernelILb1ELb0ELb1E19rocblas_complex_numIdEPKPS1_Li16ELi16EEviT3_ilPT2_i,"axG",@progbits,_ZL40rocblas_copy_triangular_syrk_herk_kernelILb1ELb0ELb1E19rocblas_complex_numIdEPKPS1_Li16ELi16EEviT3_ilPT2_i,comdat
.Lfunc_end45:
	.size	_ZL40rocblas_copy_triangular_syrk_herk_kernelILb1ELb0ELb1E19rocblas_complex_numIdEPKPS1_Li16ELi16EEviT3_ilPT2_i, .Lfunc_end45-_ZL40rocblas_copy_triangular_syrk_herk_kernelILb1ELb0ELb1E19rocblas_complex_numIdEPKPS1_Li16ELi16EEviT3_ilPT2_i
                                        ; -- End function
	.set _ZL40rocblas_copy_triangular_syrk_herk_kernelILb1ELb0ELb1E19rocblas_complex_numIdEPKPS1_Li16ELi16EEviT3_ilPT2_i.num_vgpr, 8
	.set _ZL40rocblas_copy_triangular_syrk_herk_kernelILb1ELb0ELb1E19rocblas_complex_numIdEPKPS1_Li16ELi16EEviT3_ilPT2_i.num_agpr, 0
	.set _ZL40rocblas_copy_triangular_syrk_herk_kernelILb1ELb0ELb1E19rocblas_complex_numIdEPKPS1_Li16ELi16EEviT3_ilPT2_i.numbered_sgpr, 11
	.set _ZL40rocblas_copy_triangular_syrk_herk_kernelILb1ELb0ELb1E19rocblas_complex_numIdEPKPS1_Li16ELi16EEviT3_ilPT2_i.num_named_barrier, 0
	.set _ZL40rocblas_copy_triangular_syrk_herk_kernelILb1ELb0ELb1E19rocblas_complex_numIdEPKPS1_Li16ELi16EEviT3_ilPT2_i.private_seg_size, 0
	.set _ZL40rocblas_copy_triangular_syrk_herk_kernelILb1ELb0ELb1E19rocblas_complex_numIdEPKPS1_Li16ELi16EEviT3_ilPT2_i.uses_vcc, 1
	.set _ZL40rocblas_copy_triangular_syrk_herk_kernelILb1ELb0ELb1E19rocblas_complex_numIdEPKPS1_Li16ELi16EEviT3_ilPT2_i.uses_flat_scratch, 0
	.set _ZL40rocblas_copy_triangular_syrk_herk_kernelILb1ELb0ELb1E19rocblas_complex_numIdEPKPS1_Li16ELi16EEviT3_ilPT2_i.has_dyn_sized_stack, 0
	.set _ZL40rocblas_copy_triangular_syrk_herk_kernelILb1ELb0ELb1E19rocblas_complex_numIdEPKPS1_Li16ELi16EEviT3_ilPT2_i.has_recursion, 0
	.set _ZL40rocblas_copy_triangular_syrk_herk_kernelILb1ELb0ELb1E19rocblas_complex_numIdEPKPS1_Li16ELi16EEviT3_ilPT2_i.has_indirect_call, 0
	.section	.AMDGPU.csdata,"",@progbits
; Kernel info:
; codeLenInByte = 324
; TotalNumSgprs: 15
; NumVgprs: 8
; ScratchSize: 0
; MemoryBound: 0
; FloatMode: 240
; IeeeMode: 1
; LDSByteSize: 0 bytes/workgroup (compile time only)
; SGPRBlocks: 1
; VGPRBlocks: 1
; NumSGPRsForWavesPerEU: 15
; NumVGPRsForWavesPerEU: 8
; Occupancy: 10
; WaveLimiterHint : 0
; COMPUTE_PGM_RSRC2:SCRATCH_EN: 0
; COMPUTE_PGM_RSRC2:USER_SGPR: 6
; COMPUTE_PGM_RSRC2:TRAP_HANDLER: 0
; COMPUTE_PGM_RSRC2:TGID_X_EN: 1
; COMPUTE_PGM_RSRC2:TGID_Y_EN: 1
; COMPUTE_PGM_RSRC2:TGID_Z_EN: 1
; COMPUTE_PGM_RSRC2:TIDIG_COMP_CNT: 1
	.section	.text._ZL40rocblas_copy_triangular_syrk_herk_kernelILb0ELb1ELb1E19rocblas_complex_numIdEPKPS1_Li16ELi16EEviT3_ilPT2_i,"axG",@progbits,_ZL40rocblas_copy_triangular_syrk_herk_kernelILb0ELb1ELb1E19rocblas_complex_numIdEPKPS1_Li16ELi16EEviT3_ilPT2_i,comdat
	.globl	_ZL40rocblas_copy_triangular_syrk_herk_kernelILb0ELb1ELb1E19rocblas_complex_numIdEPKPS1_Li16ELi16EEviT3_ilPT2_i ; -- Begin function _ZL40rocblas_copy_triangular_syrk_herk_kernelILb0ELb1ELb1E19rocblas_complex_numIdEPKPS1_Li16ELi16EEviT3_ilPT2_i
	.p2align	8
	.type	_ZL40rocblas_copy_triangular_syrk_herk_kernelILb0ELb1ELb1E19rocblas_complex_numIdEPKPS1_Li16ELi16EEviT3_ilPT2_i,@function
_ZL40rocblas_copy_triangular_syrk_herk_kernelILb0ELb1ELb1E19rocblas_complex_numIdEPKPS1_Li16ELi16EEviT3_ilPT2_i: ; @_ZL40rocblas_copy_triangular_syrk_herk_kernelILb0ELb1ELb1E19rocblas_complex_numIdEPKPS1_Li16ELi16EEviT3_ilPT2_i
; %bb.0:
	s_load_dword s13, s[4:5], 0x0
	s_load_dwordx2 s[0:1], s[4:5], 0x8
	s_load_dword s12, s[4:5], 0x10
	s_load_dword s14, s[4:5], 0x3c
	s_mov_b32 s9, 0
	s_lshl_b64 s[2:3], s[8:9], 3
	s_waitcnt lgkmcnt(0)
	s_add_u32 s0, s0, s2
	s_addc_u32 s1, s1, s3
	s_load_dwordx2 s[10:11], s[0:1], 0x0
	s_lshr_b32 s0, s14, 16
	s_mul_i32 s7, s7, s0
	s_and_b32 s0, s14, 0xffff
	s_mul_i32 s6, s6, s0
	v_add_u32_e32 v1, s7, v1
	v_add_u32_e32 v0, s6, v0
	v_cmp_gt_i32_e32 vcc, s13, v1
	v_cmp_gt_i32_e64 s[0:1], s13, v0
	v_cmp_gt_i32_e64 s[2:3], v1, v0
	s_and_b64 s[0:1], s[0:1], vcc
	s_and_b64 s[0:1], s[0:1], s[2:3]
	v_ashrrev_i32_e32 v2, 31, v1
	s_and_saveexec_b64 s[2:3], s[0:1]
	s_cbranch_execz .LBB46_2
; %bb.1:
	v_add_u32_e32 v3, -1, v1
	s_load_dwordx2 s[0:1], s[4:5], 0x20
	s_add_i32 s4, s13, -1
	v_mul_lo_u32 v3, v3, v1
	s_mul_hi_i32 s5, s4, s13
	s_mul_i32 s4, s4, s13
	s_lshr_b32 s6, s5, 31
	s_add_u32 s4, s4, s6
	s_addc_u32 s5, s5, 0
	v_lshrrev_b32_e32 v4, 31, v3
	s_ashr_i64 s[4:5], s[4:5], 1
	v_add_u32_e32 v3, v3, v4
	s_mul_i32 s5, s5, s8
	s_mul_hi_u32 s6, s4, s8
	v_ashrrev_i32_e32 v3, 1, v3
	s_add_i32 s5, s6, s5
	s_mul_i32 s4, s4, s8
	v_add_u32_e32 v3, v3, v0
	s_lshl_b64 s[4:5], s[4:5], 4
	v_ashrrev_i32_e32 v4, 31, v3
	s_waitcnt lgkmcnt(0)
	s_add_u32 s0, s0, s4
	v_lshlrev_b64 v[3:4], 4, v[3:4]
	s_addc_u32 s1, s1, s5
	v_mov_b32_e32 v5, s1
	v_add_co_u32_e64 v3, s[0:1], s0, v3
	v_addc_co_u32_e64 v4, s[0:1], v5, v4, s[0:1]
	global_load_dwordx4 v[3:6], v[3:4], off
	v_mad_i64_i32 v[7:8], s[0:1], v0, s12, 0
	v_mov_b32_e32 v9, s11
	v_lshlrev_b64 v[7:8], 4, v[7:8]
	v_add_co_u32_e64 v10, s[0:1], s10, v7
	v_addc_co_u32_e64 v9, s[0:1], v9, v8, s[0:1]
	v_lshlrev_b64 v[7:8], 4, v[1:2]
	v_add_co_u32_e64 v7, s[0:1], v10, v7
	v_addc_co_u32_e64 v8, s[0:1], v9, v8, s[0:1]
	s_waitcnt vmcnt(0)
	flat_store_dwordx4 v[7:8], v[3:6]
.LBB46_2:
	s_or_b64 exec, exec, s[2:3]
	v_cmp_eq_u32_e64 s[0:1], v1, v0
	s_and_b64 s[0:1], vcc, s[0:1]
	s_and_saveexec_b64 s[2:3], s[0:1]
	s_cbranch_execz .LBB46_4
; %bb.3:
	v_mad_i64_i32 v[0:1], s[0:1], v1, s12, v[1:2]
	s_waitcnt lgkmcnt(0)
	v_mov_b32_e32 v2, s11
	v_lshlrev_b64 v[0:1], 4, v[0:1]
	v_add_co_u32_e32 v0, vcc, s10, v0
	v_addc_co_u32_e32 v1, vcc, v2, v1, vcc
	v_mov_b32_e32 v2, 0
	v_mov_b32_e32 v3, v2
	flat_store_dwordx2 v[0:1], v[2:3] offset:8
.LBB46_4:
	s_endpgm
	.section	.rodata,"a",@progbits
	.p2align	6, 0x0
	.amdhsa_kernel _ZL40rocblas_copy_triangular_syrk_herk_kernelILb0ELb1ELb1E19rocblas_complex_numIdEPKPS1_Li16ELi16EEviT3_ilPT2_i
		.amdhsa_group_segment_fixed_size 0
		.amdhsa_private_segment_fixed_size 0
		.amdhsa_kernarg_size 304
		.amdhsa_user_sgpr_count 6
		.amdhsa_user_sgpr_private_segment_buffer 1
		.amdhsa_user_sgpr_dispatch_ptr 0
		.amdhsa_user_sgpr_queue_ptr 0
		.amdhsa_user_sgpr_kernarg_segment_ptr 1
		.amdhsa_user_sgpr_dispatch_id 0
		.amdhsa_user_sgpr_flat_scratch_init 0
		.amdhsa_user_sgpr_private_segment_size 0
		.amdhsa_uses_dynamic_stack 0
		.amdhsa_system_sgpr_private_segment_wavefront_offset 0
		.amdhsa_system_sgpr_workgroup_id_x 1
		.amdhsa_system_sgpr_workgroup_id_y 1
		.amdhsa_system_sgpr_workgroup_id_z 1
		.amdhsa_system_sgpr_workgroup_info 0
		.amdhsa_system_vgpr_workitem_id 1
		.amdhsa_next_free_vgpr 11
		.amdhsa_next_free_sgpr 15
		.amdhsa_reserve_vcc 1
		.amdhsa_reserve_flat_scratch 0
		.amdhsa_float_round_mode_32 0
		.amdhsa_float_round_mode_16_64 0
		.amdhsa_float_denorm_mode_32 3
		.amdhsa_float_denorm_mode_16_64 3
		.amdhsa_dx10_clamp 1
		.amdhsa_ieee_mode 1
		.amdhsa_fp16_overflow 0
		.amdhsa_exception_fp_ieee_invalid_op 0
		.amdhsa_exception_fp_denorm_src 0
		.amdhsa_exception_fp_ieee_div_zero 0
		.amdhsa_exception_fp_ieee_overflow 0
		.amdhsa_exception_fp_ieee_underflow 0
		.amdhsa_exception_fp_ieee_inexact 0
		.amdhsa_exception_int_div_zero 0
	.end_amdhsa_kernel
	.section	.text._ZL40rocblas_copy_triangular_syrk_herk_kernelILb0ELb1ELb1E19rocblas_complex_numIdEPKPS1_Li16ELi16EEviT3_ilPT2_i,"axG",@progbits,_ZL40rocblas_copy_triangular_syrk_herk_kernelILb0ELb1ELb1E19rocblas_complex_numIdEPKPS1_Li16ELi16EEviT3_ilPT2_i,comdat
.Lfunc_end46:
	.size	_ZL40rocblas_copy_triangular_syrk_herk_kernelILb0ELb1ELb1E19rocblas_complex_numIdEPKPS1_Li16ELi16EEviT3_ilPT2_i, .Lfunc_end46-_ZL40rocblas_copy_triangular_syrk_herk_kernelILb0ELb1ELb1E19rocblas_complex_numIdEPKPS1_Li16ELi16EEviT3_ilPT2_i
                                        ; -- End function
	.set _ZL40rocblas_copy_triangular_syrk_herk_kernelILb0ELb1ELb1E19rocblas_complex_numIdEPKPS1_Li16ELi16EEviT3_ilPT2_i.num_vgpr, 11
	.set _ZL40rocblas_copy_triangular_syrk_herk_kernelILb0ELb1ELb1E19rocblas_complex_numIdEPKPS1_Li16ELi16EEviT3_ilPT2_i.num_agpr, 0
	.set _ZL40rocblas_copy_triangular_syrk_herk_kernelILb0ELb1ELb1E19rocblas_complex_numIdEPKPS1_Li16ELi16EEviT3_ilPT2_i.numbered_sgpr, 15
	.set _ZL40rocblas_copy_triangular_syrk_herk_kernelILb0ELb1ELb1E19rocblas_complex_numIdEPKPS1_Li16ELi16EEviT3_ilPT2_i.num_named_barrier, 0
	.set _ZL40rocblas_copy_triangular_syrk_herk_kernelILb0ELb1ELb1E19rocblas_complex_numIdEPKPS1_Li16ELi16EEviT3_ilPT2_i.private_seg_size, 0
	.set _ZL40rocblas_copy_triangular_syrk_herk_kernelILb0ELb1ELb1E19rocblas_complex_numIdEPKPS1_Li16ELi16EEviT3_ilPT2_i.uses_vcc, 1
	.set _ZL40rocblas_copy_triangular_syrk_herk_kernelILb0ELb1ELb1E19rocblas_complex_numIdEPKPS1_Li16ELi16EEviT3_ilPT2_i.uses_flat_scratch, 0
	.set _ZL40rocblas_copy_triangular_syrk_herk_kernelILb0ELb1ELb1E19rocblas_complex_numIdEPKPS1_Li16ELi16EEviT3_ilPT2_i.has_dyn_sized_stack, 0
	.set _ZL40rocblas_copy_triangular_syrk_herk_kernelILb0ELb1ELb1E19rocblas_complex_numIdEPKPS1_Li16ELi16EEviT3_ilPT2_i.has_recursion, 0
	.set _ZL40rocblas_copy_triangular_syrk_herk_kernelILb0ELb1ELb1E19rocblas_complex_numIdEPKPS1_Li16ELi16EEviT3_ilPT2_i.has_indirect_call, 0
	.section	.AMDGPU.csdata,"",@progbits
; Kernel info:
; codeLenInByte = 412
; TotalNumSgprs: 19
; NumVgprs: 11
; ScratchSize: 0
; MemoryBound: 0
; FloatMode: 240
; IeeeMode: 1
; LDSByteSize: 0 bytes/workgroup (compile time only)
; SGPRBlocks: 2
; VGPRBlocks: 2
; NumSGPRsForWavesPerEU: 19
; NumVGPRsForWavesPerEU: 11
; Occupancy: 10
; WaveLimiterHint : 1
; COMPUTE_PGM_RSRC2:SCRATCH_EN: 0
; COMPUTE_PGM_RSRC2:USER_SGPR: 6
; COMPUTE_PGM_RSRC2:TRAP_HANDLER: 0
; COMPUTE_PGM_RSRC2:TGID_X_EN: 1
; COMPUTE_PGM_RSRC2:TGID_Y_EN: 1
; COMPUTE_PGM_RSRC2:TGID_Z_EN: 1
; COMPUTE_PGM_RSRC2:TIDIG_COMP_CNT: 1
	.section	.text._ZL40rocblas_copy_triangular_syrk_herk_kernelILb0ELb0ELb1E19rocblas_complex_numIdEPKPS1_Li16ELi16EEviT3_ilPT2_i,"axG",@progbits,_ZL40rocblas_copy_triangular_syrk_herk_kernelILb0ELb0ELb1E19rocblas_complex_numIdEPKPS1_Li16ELi16EEviT3_ilPT2_i,comdat
	.globl	_ZL40rocblas_copy_triangular_syrk_herk_kernelILb0ELb0ELb1E19rocblas_complex_numIdEPKPS1_Li16ELi16EEviT3_ilPT2_i ; -- Begin function _ZL40rocblas_copy_triangular_syrk_herk_kernelILb0ELb0ELb1E19rocblas_complex_numIdEPKPS1_Li16ELi16EEviT3_ilPT2_i
	.p2align	8
	.type	_ZL40rocblas_copy_triangular_syrk_herk_kernelILb0ELb0ELb1E19rocblas_complex_numIdEPKPS1_Li16ELi16EEviT3_ilPT2_i,@function
_ZL40rocblas_copy_triangular_syrk_herk_kernelILb0ELb0ELb1E19rocblas_complex_numIdEPKPS1_Li16ELi16EEviT3_ilPT2_i: ; @_ZL40rocblas_copy_triangular_syrk_herk_kernelILb0ELb0ELb1E19rocblas_complex_numIdEPKPS1_Li16ELi16EEviT3_ilPT2_i
; %bb.0:
	s_load_dword s11, s[4:5], 0x0
	s_load_dwordx2 s[0:1], s[4:5], 0x8
	s_load_dword s10, s[4:5], 0x10
	s_load_dword s12, s[4:5], 0x3c
	s_mov_b32 s9, 0
	s_lshl_b64 s[2:3], s[8:9], 3
	s_waitcnt lgkmcnt(0)
	s_add_u32 s0, s0, s2
	s_addc_u32 s1, s1, s3
	s_load_dwordx2 s[2:3], s[0:1], 0x0
	s_lshr_b32 s0, s12, 16
	s_mul_i32 s7, s7, s0
	s_and_b32 s0, s12, 0xffff
	s_mul_i32 s6, s6, s0
	v_add_u32_e32 v1, s7, v1
	v_add_u32_e32 v0, s6, v0
	v_cmp_gt_i32_e32 vcc, s11, v0
	v_cmp_lt_i32_e64 s[0:1], v1, v0
	s_and_b64 s[6:7], vcc, s[0:1]
	v_ashrrev_i32_e32 v2, 31, v1
	s_and_saveexec_b64 s[0:1], s[6:7]
	s_cbranch_execz .LBB47_2
; %bb.1:
	v_not_b32_e32 v3, v1
	v_lshl_add_u32 v4, s11, 1, v3
	s_add_i32 s6, s11, -1
	v_mul_lo_u32 v4, v4, v1
	s_mul_hi_i32 s7, s6, s11
	s_mul_i32 s6, s6, s11
	s_lshr_b32 s9, s7, 31
	s_add_u32 s6, s6, s9
	s_load_dwordx2 s[4:5], s[4:5], 0x20
	s_addc_u32 s7, s7, 0
	v_lshrrev_b32_e32 v5, 31, v4
	s_ashr_i64 s[6:7], s[6:7], 1
	v_add_u32_e32 v4, v4, v5
	s_mul_i32 s7, s7, s8
	s_mul_hi_u32 s9, s6, s8
	v_ashrrev_i32_e32 v4, 1, v4
	s_add_i32 s7, s9, s7
	s_mul_i32 s6, s6, s8
	v_add3_u32 v3, v0, v3, v4
	s_lshl_b64 s[6:7], s[6:7], 4
	v_ashrrev_i32_e32 v4, 31, v3
	s_waitcnt lgkmcnt(0)
	s_add_u32 s4, s4, s6
	v_lshlrev_b64 v[3:4], 4, v[3:4]
	s_addc_u32 s5, s5, s7
	v_mov_b32_e32 v5, s5
	v_add_co_u32_e32 v3, vcc, s4, v3
	v_addc_co_u32_e32 v4, vcc, v5, v4, vcc
	global_load_dwordx4 v[3:6], v[3:4], off
	v_mad_i64_i32 v[7:8], s[4:5], v0, s10, 0
	v_mov_b32_e32 v9, s3
	v_lshlrev_b64 v[7:8], 4, v[7:8]
	v_add_co_u32_e32 v10, vcc, s2, v7
	v_addc_co_u32_e32 v9, vcc, v9, v8, vcc
	v_lshlrev_b64 v[7:8], 4, v[1:2]
	v_add_co_u32_e32 v7, vcc, v10, v7
	v_addc_co_u32_e32 v8, vcc, v9, v8, vcc
	s_waitcnt vmcnt(0)
	flat_store_dwordx4 v[7:8], v[3:6]
.LBB47_2:
	s_or_b64 exec, exec, s[0:1]
	v_cmp_gt_i32_e32 vcc, s11, v1
	v_cmp_eq_u32_e64 s[0:1], v1, v0
	s_and_b64 s[0:1], vcc, s[0:1]
	s_and_saveexec_b64 s[4:5], s[0:1]
	s_cbranch_execz .LBB47_4
; %bb.3:
	v_mad_i64_i32 v[0:1], s[0:1], v1, s10, v[1:2]
	s_waitcnt lgkmcnt(0)
	v_mov_b32_e32 v2, s3
	v_lshlrev_b64 v[0:1], 4, v[0:1]
	v_add_co_u32_e32 v0, vcc, s2, v0
	v_addc_co_u32_e32 v1, vcc, v2, v1, vcc
	v_mov_b32_e32 v2, 0
	v_mov_b32_e32 v3, v2
	flat_store_dwordx2 v[0:1], v[2:3] offset:8
.LBB47_4:
	s_endpgm
	.section	.rodata,"a",@progbits
	.p2align	6, 0x0
	.amdhsa_kernel _ZL40rocblas_copy_triangular_syrk_herk_kernelILb0ELb0ELb1E19rocblas_complex_numIdEPKPS1_Li16ELi16EEviT3_ilPT2_i
		.amdhsa_group_segment_fixed_size 0
		.amdhsa_private_segment_fixed_size 0
		.amdhsa_kernarg_size 304
		.amdhsa_user_sgpr_count 6
		.amdhsa_user_sgpr_private_segment_buffer 1
		.amdhsa_user_sgpr_dispatch_ptr 0
		.amdhsa_user_sgpr_queue_ptr 0
		.amdhsa_user_sgpr_kernarg_segment_ptr 1
		.amdhsa_user_sgpr_dispatch_id 0
		.amdhsa_user_sgpr_flat_scratch_init 0
		.amdhsa_user_sgpr_private_segment_size 0
		.amdhsa_uses_dynamic_stack 0
		.amdhsa_system_sgpr_private_segment_wavefront_offset 0
		.amdhsa_system_sgpr_workgroup_id_x 1
		.amdhsa_system_sgpr_workgroup_id_y 1
		.amdhsa_system_sgpr_workgroup_id_z 1
		.amdhsa_system_sgpr_workgroup_info 0
		.amdhsa_system_vgpr_workitem_id 1
		.amdhsa_next_free_vgpr 11
		.amdhsa_next_free_sgpr 13
		.amdhsa_reserve_vcc 1
		.amdhsa_reserve_flat_scratch 0
		.amdhsa_float_round_mode_32 0
		.amdhsa_float_round_mode_16_64 0
		.amdhsa_float_denorm_mode_32 3
		.amdhsa_float_denorm_mode_16_64 3
		.amdhsa_dx10_clamp 1
		.amdhsa_ieee_mode 1
		.amdhsa_fp16_overflow 0
		.amdhsa_exception_fp_ieee_invalid_op 0
		.amdhsa_exception_fp_denorm_src 0
		.amdhsa_exception_fp_ieee_div_zero 0
		.amdhsa_exception_fp_ieee_overflow 0
		.amdhsa_exception_fp_ieee_underflow 0
		.amdhsa_exception_fp_ieee_inexact 0
		.amdhsa_exception_int_div_zero 0
	.end_amdhsa_kernel
	.section	.text._ZL40rocblas_copy_triangular_syrk_herk_kernelILb0ELb0ELb1E19rocblas_complex_numIdEPKPS1_Li16ELi16EEviT3_ilPT2_i,"axG",@progbits,_ZL40rocblas_copy_triangular_syrk_herk_kernelILb0ELb0ELb1E19rocblas_complex_numIdEPKPS1_Li16ELi16EEviT3_ilPT2_i,comdat
.Lfunc_end47:
	.size	_ZL40rocblas_copy_triangular_syrk_herk_kernelILb0ELb0ELb1E19rocblas_complex_numIdEPKPS1_Li16ELi16EEviT3_ilPT2_i, .Lfunc_end47-_ZL40rocblas_copy_triangular_syrk_herk_kernelILb0ELb0ELb1E19rocblas_complex_numIdEPKPS1_Li16ELi16EEviT3_ilPT2_i
                                        ; -- End function
	.set _ZL40rocblas_copy_triangular_syrk_herk_kernelILb0ELb0ELb1E19rocblas_complex_numIdEPKPS1_Li16ELi16EEviT3_ilPT2_i.num_vgpr, 11
	.set _ZL40rocblas_copy_triangular_syrk_herk_kernelILb0ELb0ELb1E19rocblas_complex_numIdEPKPS1_Li16ELi16EEviT3_ilPT2_i.num_agpr, 0
	.set _ZL40rocblas_copy_triangular_syrk_herk_kernelILb0ELb0ELb1E19rocblas_complex_numIdEPKPS1_Li16ELi16EEviT3_ilPT2_i.numbered_sgpr, 13
	.set _ZL40rocblas_copy_triangular_syrk_herk_kernelILb0ELb0ELb1E19rocblas_complex_numIdEPKPS1_Li16ELi16EEviT3_ilPT2_i.num_named_barrier, 0
	.set _ZL40rocblas_copy_triangular_syrk_herk_kernelILb0ELb0ELb1E19rocblas_complex_numIdEPKPS1_Li16ELi16EEviT3_ilPT2_i.private_seg_size, 0
	.set _ZL40rocblas_copy_triangular_syrk_herk_kernelILb0ELb0ELb1E19rocblas_complex_numIdEPKPS1_Li16ELi16EEviT3_ilPT2_i.uses_vcc, 1
	.set _ZL40rocblas_copy_triangular_syrk_herk_kernelILb0ELb0ELb1E19rocblas_complex_numIdEPKPS1_Li16ELi16EEviT3_ilPT2_i.uses_flat_scratch, 0
	.set _ZL40rocblas_copy_triangular_syrk_herk_kernelILb0ELb0ELb1E19rocblas_complex_numIdEPKPS1_Li16ELi16EEviT3_ilPT2_i.has_dyn_sized_stack, 0
	.set _ZL40rocblas_copy_triangular_syrk_herk_kernelILb0ELb0ELb1E19rocblas_complex_numIdEPKPS1_Li16ELi16EEviT3_ilPT2_i.has_recursion, 0
	.set _ZL40rocblas_copy_triangular_syrk_herk_kernelILb0ELb0ELb1E19rocblas_complex_numIdEPKPS1_Li16ELi16EEviT3_ilPT2_i.has_indirect_call, 0
	.section	.AMDGPU.csdata,"",@progbits
; Kernel info:
; codeLenInByte = 392
; TotalNumSgprs: 17
; NumVgprs: 11
; ScratchSize: 0
; MemoryBound: 0
; FloatMode: 240
; IeeeMode: 1
; LDSByteSize: 0 bytes/workgroup (compile time only)
; SGPRBlocks: 2
; VGPRBlocks: 2
; NumSGPRsForWavesPerEU: 17
; NumVGPRsForWavesPerEU: 11
; Occupancy: 10
; WaveLimiterHint : 1
; COMPUTE_PGM_RSRC2:SCRATCH_EN: 0
; COMPUTE_PGM_RSRC2:USER_SGPR: 6
; COMPUTE_PGM_RSRC2:TRAP_HANDLER: 0
; COMPUTE_PGM_RSRC2:TGID_X_EN: 1
; COMPUTE_PGM_RSRC2:TGID_Y_EN: 1
; COMPUTE_PGM_RSRC2:TGID_Z_EN: 1
; COMPUTE_PGM_RSRC2:TIDIG_COMP_CNT: 1
	.section	.AMDGPU.gpr_maximums,"",@progbits
	.set amdgpu.max_num_vgpr, 0
	.set amdgpu.max_num_agpr, 0
	.set amdgpu.max_num_sgpr, 0
	.section	.AMDGPU.csdata,"",@progbits
	.type	__hip_cuid_eb24ca228ea5f259,@object ; @__hip_cuid_eb24ca228ea5f259
	.section	.bss,"aw",@nobits
	.globl	__hip_cuid_eb24ca228ea5f259
__hip_cuid_eb24ca228ea5f259:
	.byte	0                               ; 0x0
	.size	__hip_cuid_eb24ca228ea5f259, 1

	.ident	"AMD clang version 22.0.0git (https://github.com/RadeonOpenCompute/llvm-project roc-7.2.4 26084 f58b06dce1f9c15707c5f808fd002e18c2accf7e)"
	.section	".note.GNU-stack","",@progbits
	.addrsig
	.addrsig_sym __hip_cuid_eb24ca228ea5f259
	.amdgpu_metadata
---
amdhsa.kernels:
  - .args:
      - .offset:         0
        .size:           4
        .value_kind:     by_value
      - .address_space:  global
        .offset:         8
        .size:           8
        .value_kind:     global_buffer
      - .offset:         16
        .size:           4
        .value_kind:     by_value
      - .offset:         24
        .size:           8
        .value_kind:     by_value
      - .address_space:  global
        .offset:         32
        .size:           8
        .value_kind:     global_buffer
      - .offset:         40
        .size:           4
        .value_kind:     by_value
      - .offset:         48
        .size:           4
        .value_kind:     hidden_block_count_x
      - .offset:         52
        .size:           4
        .value_kind:     hidden_block_count_y
      - .offset:         56
        .size:           4
        .value_kind:     hidden_block_count_z
      - .offset:         60
        .size:           2
        .value_kind:     hidden_group_size_x
      - .offset:         62
        .size:           2
        .value_kind:     hidden_group_size_y
      - .offset:         64
        .size:           2
        .value_kind:     hidden_group_size_z
      - .offset:         66
        .size:           2
        .value_kind:     hidden_remainder_x
      - .offset:         68
        .size:           2
        .value_kind:     hidden_remainder_y
      - .offset:         70
        .size:           2
        .value_kind:     hidden_remainder_z
      - .offset:         88
        .size:           8
        .value_kind:     hidden_global_offset_x
      - .offset:         96
        .size:           8
        .value_kind:     hidden_global_offset_y
      - .offset:         104
        .size:           8
        .value_kind:     hidden_global_offset_z
      - .offset:         112
        .size:           2
        .value_kind:     hidden_grid_dims
    .group_segment_fixed_size: 0
    .kernarg_segment_align: 8
    .kernarg_segment_size: 304
    .language:       OpenCL C
    .language_version:
      - 2
      - 0
    .max_flat_workgroup_size: 256
    .name:           _ZL40rocblas_copy_triangular_syrk_herk_kernelILb1ELb1ELb0EfPfLi16ELi16EEviT3_ilPT2_i
    .private_segment_fixed_size: 0
    .sgpr_count:     20
    .sgpr_spill_count: 0
    .symbol:         _ZL40rocblas_copy_triangular_syrk_herk_kernelILb1ELb1ELb0EfPfLi16ELi16EEviT3_ilPT2_i.kd
    .uniform_work_group_size: 1
    .uses_dynamic_stack: false
    .vgpr_count:     7
    .vgpr_spill_count: 0
    .wavefront_size: 64
  - .args:
      - .offset:         0
        .size:           4
        .value_kind:     by_value
      - .address_space:  global
        .offset:         8
        .size:           8
        .value_kind:     global_buffer
      - .offset:         16
        .size:           4
        .value_kind:     by_value
      - .offset:         24
        .size:           8
        .value_kind:     by_value
      - .address_space:  global
        .offset:         32
        .size:           8
        .value_kind:     global_buffer
      - .offset:         40
        .size:           4
        .value_kind:     by_value
      - .offset:         48
        .size:           4
        .value_kind:     hidden_block_count_x
      - .offset:         52
        .size:           4
        .value_kind:     hidden_block_count_y
      - .offset:         56
        .size:           4
        .value_kind:     hidden_block_count_z
      - .offset:         60
        .size:           2
        .value_kind:     hidden_group_size_x
      - .offset:         62
        .size:           2
        .value_kind:     hidden_group_size_y
      - .offset:         64
        .size:           2
        .value_kind:     hidden_group_size_z
      - .offset:         66
        .size:           2
        .value_kind:     hidden_remainder_x
      - .offset:         68
        .size:           2
        .value_kind:     hidden_remainder_y
      - .offset:         70
        .size:           2
        .value_kind:     hidden_remainder_z
      - .offset:         88
        .size:           8
        .value_kind:     hidden_global_offset_x
      - .offset:         96
        .size:           8
        .value_kind:     hidden_global_offset_y
      - .offset:         104
        .size:           8
        .value_kind:     hidden_global_offset_z
      - .offset:         112
        .size:           2
        .value_kind:     hidden_grid_dims
    .group_segment_fixed_size: 0
    .kernarg_segment_align: 8
    .kernarg_segment_size: 304
    .language:       OpenCL C
    .language_version:
      - 2
      - 0
    .max_flat_workgroup_size: 256
    .name:           _ZL40rocblas_copy_triangular_syrk_herk_kernelILb1ELb0ELb0EfPfLi16ELi16EEviT3_ilPT2_i
    .private_segment_fixed_size: 0
    .sgpr_count:     20
    .sgpr_spill_count: 0
    .symbol:         _ZL40rocblas_copy_triangular_syrk_herk_kernelILb1ELb0ELb0EfPfLi16ELi16EEviT3_ilPT2_i.kd
    .uniform_work_group_size: 1
    .uses_dynamic_stack: false
    .vgpr_count:     7
    .vgpr_spill_count: 0
    .wavefront_size: 64
  - .args:
      - .offset:         0
        .size:           4
        .value_kind:     by_value
      - .address_space:  global
        .offset:         8
        .size:           8
        .value_kind:     global_buffer
      - .offset:         16
        .size:           4
        .value_kind:     by_value
      - .offset:         24
        .size:           8
        .value_kind:     by_value
      - .address_space:  global
        .offset:         32
        .size:           8
        .value_kind:     global_buffer
      - .offset:         40
        .size:           4
        .value_kind:     by_value
      - .offset:         48
        .size:           4
        .value_kind:     hidden_block_count_x
      - .offset:         52
        .size:           4
        .value_kind:     hidden_block_count_y
      - .offset:         56
        .size:           4
        .value_kind:     hidden_block_count_z
      - .offset:         60
        .size:           2
        .value_kind:     hidden_group_size_x
      - .offset:         62
        .size:           2
        .value_kind:     hidden_group_size_y
      - .offset:         64
        .size:           2
        .value_kind:     hidden_group_size_z
      - .offset:         66
        .size:           2
        .value_kind:     hidden_remainder_x
      - .offset:         68
        .size:           2
        .value_kind:     hidden_remainder_y
      - .offset:         70
        .size:           2
        .value_kind:     hidden_remainder_z
      - .offset:         88
        .size:           8
        .value_kind:     hidden_global_offset_x
      - .offset:         96
        .size:           8
        .value_kind:     hidden_global_offset_y
      - .offset:         104
        .size:           8
        .value_kind:     hidden_global_offset_z
      - .offset:         112
        .size:           2
        .value_kind:     hidden_grid_dims
    .group_segment_fixed_size: 0
    .kernarg_segment_align: 8
    .kernarg_segment_size: 304
    .language:       OpenCL C
    .language_version:
      - 2
      - 0
    .max_flat_workgroup_size: 256
    .name:           _ZL40rocblas_copy_triangular_syrk_herk_kernelILb0ELb1ELb0EfPfLi16ELi16EEviT3_ilPT2_i
    .private_segment_fixed_size: 0
    .sgpr_count:     14
    .sgpr_spill_count: 0
    .symbol:         _ZL40rocblas_copy_triangular_syrk_herk_kernelILb0ELb1ELb0EfPfLi16ELi16EEviT3_ilPT2_i.kd
    .uniform_work_group_size: 1
    .uses_dynamic_stack: false
    .vgpr_count:     6
    .vgpr_spill_count: 0
    .wavefront_size: 64
  - .args:
      - .offset:         0
        .size:           4
        .value_kind:     by_value
      - .address_space:  global
        .offset:         8
        .size:           8
        .value_kind:     global_buffer
      - .offset:         16
        .size:           4
        .value_kind:     by_value
      - .offset:         24
        .size:           8
        .value_kind:     by_value
      - .address_space:  global
        .offset:         32
        .size:           8
        .value_kind:     global_buffer
      - .offset:         40
        .size:           4
        .value_kind:     by_value
      - .offset:         48
        .size:           4
        .value_kind:     hidden_block_count_x
      - .offset:         52
        .size:           4
        .value_kind:     hidden_block_count_y
      - .offset:         56
        .size:           4
        .value_kind:     hidden_block_count_z
      - .offset:         60
        .size:           2
        .value_kind:     hidden_group_size_x
      - .offset:         62
        .size:           2
        .value_kind:     hidden_group_size_y
      - .offset:         64
        .size:           2
        .value_kind:     hidden_group_size_z
      - .offset:         66
        .size:           2
        .value_kind:     hidden_remainder_x
      - .offset:         68
        .size:           2
        .value_kind:     hidden_remainder_y
      - .offset:         70
        .size:           2
        .value_kind:     hidden_remainder_z
      - .offset:         88
        .size:           8
        .value_kind:     hidden_global_offset_x
      - .offset:         96
        .size:           8
        .value_kind:     hidden_global_offset_y
      - .offset:         104
        .size:           8
        .value_kind:     hidden_global_offset_z
      - .offset:         112
        .size:           2
        .value_kind:     hidden_grid_dims
    .group_segment_fixed_size: 0
    .kernarg_segment_align: 8
    .kernarg_segment_size: 304
    .language:       OpenCL C
    .language_version:
      - 2
      - 0
    .max_flat_workgroup_size: 256
    .name:           _ZL40rocblas_copy_triangular_syrk_herk_kernelILb0ELb0ELb0EfPfLi16ELi16EEviT3_ilPT2_i
    .private_segment_fixed_size: 0
    .sgpr_count:     15
    .sgpr_spill_count: 0
    .symbol:         _ZL40rocblas_copy_triangular_syrk_herk_kernelILb0ELb0ELb0EfPfLi16ELi16EEviT3_ilPT2_i.kd
    .uniform_work_group_size: 1
    .uses_dynamic_stack: false
    .vgpr_count:     6
    .vgpr_spill_count: 0
    .wavefront_size: 64
  - .args:
      - .offset:         0
        .size:           4
        .value_kind:     by_value
      - .address_space:  global
        .offset:         8
        .size:           8
        .value_kind:     global_buffer
      - .offset:         16
        .size:           4
        .value_kind:     by_value
      - .offset:         24
        .size:           8
        .value_kind:     by_value
      - .address_space:  global
        .offset:         32
        .size:           8
        .value_kind:     global_buffer
      - .offset:         40
        .size:           4
        .value_kind:     by_value
      - .offset:         48
        .size:           4
        .value_kind:     hidden_block_count_x
      - .offset:         52
        .size:           4
        .value_kind:     hidden_block_count_y
      - .offset:         56
        .size:           4
        .value_kind:     hidden_block_count_z
      - .offset:         60
        .size:           2
        .value_kind:     hidden_group_size_x
      - .offset:         62
        .size:           2
        .value_kind:     hidden_group_size_y
      - .offset:         64
        .size:           2
        .value_kind:     hidden_group_size_z
      - .offset:         66
        .size:           2
        .value_kind:     hidden_remainder_x
      - .offset:         68
        .size:           2
        .value_kind:     hidden_remainder_y
      - .offset:         70
        .size:           2
        .value_kind:     hidden_remainder_z
      - .offset:         88
        .size:           8
        .value_kind:     hidden_global_offset_x
      - .offset:         96
        .size:           8
        .value_kind:     hidden_global_offset_y
      - .offset:         104
        .size:           8
        .value_kind:     hidden_global_offset_z
      - .offset:         112
        .size:           2
        .value_kind:     hidden_grid_dims
    .group_segment_fixed_size: 0
    .kernarg_segment_align: 8
    .kernarg_segment_size: 304
    .language:       OpenCL C
    .language_version:
      - 2
      - 0
    .max_flat_workgroup_size: 256
    .name:           _ZL40rocblas_copy_triangular_syrk_herk_kernelILb1ELb1ELb0EdPdLi16ELi16EEviT3_ilPT2_i
    .private_segment_fixed_size: 0
    .sgpr_count:     20
    .sgpr_spill_count: 0
    .symbol:         _ZL40rocblas_copy_triangular_syrk_herk_kernelILb1ELb1ELb0EdPdLi16ELi16EEviT3_ilPT2_i.kd
    .uniform_work_group_size: 1
    .uses_dynamic_stack: false
    .vgpr_count:     7
    .vgpr_spill_count: 0
    .wavefront_size: 64
  - .args:
      - .offset:         0
        .size:           4
        .value_kind:     by_value
      - .address_space:  global
        .offset:         8
        .size:           8
        .value_kind:     global_buffer
      - .offset:         16
        .size:           4
        .value_kind:     by_value
      - .offset:         24
        .size:           8
        .value_kind:     by_value
      - .address_space:  global
        .offset:         32
        .size:           8
        .value_kind:     global_buffer
      - .offset:         40
        .size:           4
        .value_kind:     by_value
      - .offset:         48
        .size:           4
        .value_kind:     hidden_block_count_x
      - .offset:         52
        .size:           4
        .value_kind:     hidden_block_count_y
      - .offset:         56
        .size:           4
        .value_kind:     hidden_block_count_z
      - .offset:         60
        .size:           2
        .value_kind:     hidden_group_size_x
      - .offset:         62
        .size:           2
        .value_kind:     hidden_group_size_y
      - .offset:         64
        .size:           2
        .value_kind:     hidden_group_size_z
      - .offset:         66
        .size:           2
        .value_kind:     hidden_remainder_x
      - .offset:         68
        .size:           2
        .value_kind:     hidden_remainder_y
      - .offset:         70
        .size:           2
        .value_kind:     hidden_remainder_z
      - .offset:         88
        .size:           8
        .value_kind:     hidden_global_offset_x
      - .offset:         96
        .size:           8
        .value_kind:     hidden_global_offset_y
      - .offset:         104
        .size:           8
        .value_kind:     hidden_global_offset_z
      - .offset:         112
        .size:           2
        .value_kind:     hidden_grid_dims
    .group_segment_fixed_size: 0
    .kernarg_segment_align: 8
    .kernarg_segment_size: 304
    .language:       OpenCL C
    .language_version:
      - 2
      - 0
    .max_flat_workgroup_size: 256
    .name:           _ZL40rocblas_copy_triangular_syrk_herk_kernelILb1ELb0ELb0EdPdLi16ELi16EEviT3_ilPT2_i
    .private_segment_fixed_size: 0
    .sgpr_count:     20
    .sgpr_spill_count: 0
    .symbol:         _ZL40rocblas_copy_triangular_syrk_herk_kernelILb1ELb0ELb0EdPdLi16ELi16EEviT3_ilPT2_i.kd
    .uniform_work_group_size: 1
    .uses_dynamic_stack: false
    .vgpr_count:     7
    .vgpr_spill_count: 0
    .wavefront_size: 64
  - .args:
      - .offset:         0
        .size:           4
        .value_kind:     by_value
      - .address_space:  global
        .offset:         8
        .size:           8
        .value_kind:     global_buffer
      - .offset:         16
        .size:           4
        .value_kind:     by_value
      - .offset:         24
        .size:           8
        .value_kind:     by_value
      - .address_space:  global
        .offset:         32
        .size:           8
        .value_kind:     global_buffer
      - .offset:         40
        .size:           4
        .value_kind:     by_value
      - .offset:         48
        .size:           4
        .value_kind:     hidden_block_count_x
      - .offset:         52
        .size:           4
        .value_kind:     hidden_block_count_y
      - .offset:         56
        .size:           4
        .value_kind:     hidden_block_count_z
      - .offset:         60
        .size:           2
        .value_kind:     hidden_group_size_x
      - .offset:         62
        .size:           2
        .value_kind:     hidden_group_size_y
      - .offset:         64
        .size:           2
        .value_kind:     hidden_group_size_z
      - .offset:         66
        .size:           2
        .value_kind:     hidden_remainder_x
      - .offset:         68
        .size:           2
        .value_kind:     hidden_remainder_y
      - .offset:         70
        .size:           2
        .value_kind:     hidden_remainder_z
      - .offset:         88
        .size:           8
        .value_kind:     hidden_global_offset_x
      - .offset:         96
        .size:           8
        .value_kind:     hidden_global_offset_y
      - .offset:         104
        .size:           8
        .value_kind:     hidden_global_offset_z
      - .offset:         112
        .size:           2
        .value_kind:     hidden_grid_dims
    .group_segment_fixed_size: 0
    .kernarg_segment_align: 8
    .kernarg_segment_size: 304
    .language:       OpenCL C
    .language_version:
      - 2
      - 0
    .max_flat_workgroup_size: 256
    .name:           _ZL40rocblas_copy_triangular_syrk_herk_kernelILb0ELb1ELb0EdPdLi16ELi16EEviT3_ilPT2_i
    .private_segment_fixed_size: 0
    .sgpr_count:     14
    .sgpr_spill_count: 0
    .symbol:         _ZL40rocblas_copy_triangular_syrk_herk_kernelILb0ELb1ELb0EdPdLi16ELi16EEviT3_ilPT2_i.kd
    .uniform_work_group_size: 1
    .uses_dynamic_stack: false
    .vgpr_count:     7
    .vgpr_spill_count: 0
    .wavefront_size: 64
  - .args:
      - .offset:         0
        .size:           4
        .value_kind:     by_value
      - .address_space:  global
        .offset:         8
        .size:           8
        .value_kind:     global_buffer
      - .offset:         16
        .size:           4
        .value_kind:     by_value
      - .offset:         24
        .size:           8
        .value_kind:     by_value
      - .address_space:  global
        .offset:         32
        .size:           8
        .value_kind:     global_buffer
      - .offset:         40
        .size:           4
        .value_kind:     by_value
      - .offset:         48
        .size:           4
        .value_kind:     hidden_block_count_x
      - .offset:         52
        .size:           4
        .value_kind:     hidden_block_count_y
      - .offset:         56
        .size:           4
        .value_kind:     hidden_block_count_z
      - .offset:         60
        .size:           2
        .value_kind:     hidden_group_size_x
      - .offset:         62
        .size:           2
        .value_kind:     hidden_group_size_y
      - .offset:         64
        .size:           2
        .value_kind:     hidden_group_size_z
      - .offset:         66
        .size:           2
        .value_kind:     hidden_remainder_x
      - .offset:         68
        .size:           2
        .value_kind:     hidden_remainder_y
      - .offset:         70
        .size:           2
        .value_kind:     hidden_remainder_z
      - .offset:         88
        .size:           8
        .value_kind:     hidden_global_offset_x
      - .offset:         96
        .size:           8
        .value_kind:     hidden_global_offset_y
      - .offset:         104
        .size:           8
        .value_kind:     hidden_global_offset_z
      - .offset:         112
        .size:           2
        .value_kind:     hidden_grid_dims
    .group_segment_fixed_size: 0
    .kernarg_segment_align: 8
    .kernarg_segment_size: 304
    .language:       OpenCL C
    .language_version:
      - 2
      - 0
    .max_flat_workgroup_size: 256
    .name:           _ZL40rocblas_copy_triangular_syrk_herk_kernelILb0ELb0ELb0EdPdLi16ELi16EEviT3_ilPT2_i
    .private_segment_fixed_size: 0
    .sgpr_count:     15
    .sgpr_spill_count: 0
    .symbol:         _ZL40rocblas_copy_triangular_syrk_herk_kernelILb0ELb0ELb0EdPdLi16ELi16EEviT3_ilPT2_i.kd
    .uniform_work_group_size: 1
    .uses_dynamic_stack: false
    .vgpr_count:     7
    .vgpr_spill_count: 0
    .wavefront_size: 64
  - .args:
      - .offset:         0
        .size:           4
        .value_kind:     by_value
      - .address_space:  global
        .offset:         8
        .size:           8
        .value_kind:     global_buffer
      - .offset:         16
        .size:           4
        .value_kind:     by_value
      - .offset:         24
        .size:           8
        .value_kind:     by_value
      - .address_space:  global
        .offset:         32
        .size:           8
        .value_kind:     global_buffer
      - .offset:         40
        .size:           4
        .value_kind:     by_value
      - .offset:         48
        .size:           4
        .value_kind:     hidden_block_count_x
      - .offset:         52
        .size:           4
        .value_kind:     hidden_block_count_y
      - .offset:         56
        .size:           4
        .value_kind:     hidden_block_count_z
      - .offset:         60
        .size:           2
        .value_kind:     hidden_group_size_x
      - .offset:         62
        .size:           2
        .value_kind:     hidden_group_size_y
      - .offset:         64
        .size:           2
        .value_kind:     hidden_group_size_z
      - .offset:         66
        .size:           2
        .value_kind:     hidden_remainder_x
      - .offset:         68
        .size:           2
        .value_kind:     hidden_remainder_y
      - .offset:         70
        .size:           2
        .value_kind:     hidden_remainder_z
      - .offset:         88
        .size:           8
        .value_kind:     hidden_global_offset_x
      - .offset:         96
        .size:           8
        .value_kind:     hidden_global_offset_y
      - .offset:         104
        .size:           8
        .value_kind:     hidden_global_offset_z
      - .offset:         112
        .size:           2
        .value_kind:     hidden_grid_dims
    .group_segment_fixed_size: 0
    .kernarg_segment_align: 8
    .kernarg_segment_size: 304
    .language:       OpenCL C
    .language_version:
      - 2
      - 0
    .max_flat_workgroup_size: 256
    .name:           _ZL40rocblas_copy_triangular_syrk_herk_kernelILb1ELb1ELb0E19rocblas_complex_numIfEPS1_Li16ELi16EEviT3_ilPT2_i
    .private_segment_fixed_size: 0
    .sgpr_count:     20
    .sgpr_spill_count: 0
    .symbol:         _ZL40rocblas_copy_triangular_syrk_herk_kernelILb1ELb1ELb0E19rocblas_complex_numIfEPS1_Li16ELi16EEviT3_ilPT2_i.kd
    .uniform_work_group_size: 1
    .uses_dynamic_stack: false
    .vgpr_count:     7
    .vgpr_spill_count: 0
    .wavefront_size: 64
  - .args:
      - .offset:         0
        .size:           4
        .value_kind:     by_value
      - .address_space:  global
        .offset:         8
        .size:           8
        .value_kind:     global_buffer
      - .offset:         16
        .size:           4
        .value_kind:     by_value
      - .offset:         24
        .size:           8
        .value_kind:     by_value
      - .address_space:  global
        .offset:         32
        .size:           8
        .value_kind:     global_buffer
      - .offset:         40
        .size:           4
        .value_kind:     by_value
      - .offset:         48
        .size:           4
        .value_kind:     hidden_block_count_x
      - .offset:         52
        .size:           4
        .value_kind:     hidden_block_count_y
      - .offset:         56
        .size:           4
        .value_kind:     hidden_block_count_z
      - .offset:         60
        .size:           2
        .value_kind:     hidden_group_size_x
      - .offset:         62
        .size:           2
        .value_kind:     hidden_group_size_y
      - .offset:         64
        .size:           2
        .value_kind:     hidden_group_size_z
      - .offset:         66
        .size:           2
        .value_kind:     hidden_remainder_x
      - .offset:         68
        .size:           2
        .value_kind:     hidden_remainder_y
      - .offset:         70
        .size:           2
        .value_kind:     hidden_remainder_z
      - .offset:         88
        .size:           8
        .value_kind:     hidden_global_offset_x
      - .offset:         96
        .size:           8
        .value_kind:     hidden_global_offset_y
      - .offset:         104
        .size:           8
        .value_kind:     hidden_global_offset_z
      - .offset:         112
        .size:           2
        .value_kind:     hidden_grid_dims
    .group_segment_fixed_size: 0
    .kernarg_segment_align: 8
    .kernarg_segment_size: 304
    .language:       OpenCL C
    .language_version:
      - 2
      - 0
    .max_flat_workgroup_size: 256
    .name:           _ZL40rocblas_copy_triangular_syrk_herk_kernelILb1ELb0ELb0E19rocblas_complex_numIfEPS1_Li16ELi16EEviT3_ilPT2_i
    .private_segment_fixed_size: 0
    .sgpr_count:     20
    .sgpr_spill_count: 0
    .symbol:         _ZL40rocblas_copy_triangular_syrk_herk_kernelILb1ELb0ELb0E19rocblas_complex_numIfEPS1_Li16ELi16EEviT3_ilPT2_i.kd
    .uniform_work_group_size: 1
    .uses_dynamic_stack: false
    .vgpr_count:     7
    .vgpr_spill_count: 0
    .wavefront_size: 64
  - .args:
      - .offset:         0
        .size:           4
        .value_kind:     by_value
      - .address_space:  global
        .offset:         8
        .size:           8
        .value_kind:     global_buffer
      - .offset:         16
        .size:           4
        .value_kind:     by_value
      - .offset:         24
        .size:           8
        .value_kind:     by_value
      - .address_space:  global
        .offset:         32
        .size:           8
        .value_kind:     global_buffer
      - .offset:         40
        .size:           4
        .value_kind:     by_value
      - .offset:         48
        .size:           4
        .value_kind:     hidden_block_count_x
      - .offset:         52
        .size:           4
        .value_kind:     hidden_block_count_y
      - .offset:         56
        .size:           4
        .value_kind:     hidden_block_count_z
      - .offset:         60
        .size:           2
        .value_kind:     hidden_group_size_x
      - .offset:         62
        .size:           2
        .value_kind:     hidden_group_size_y
      - .offset:         64
        .size:           2
        .value_kind:     hidden_group_size_z
      - .offset:         66
        .size:           2
        .value_kind:     hidden_remainder_x
      - .offset:         68
        .size:           2
        .value_kind:     hidden_remainder_y
      - .offset:         70
        .size:           2
        .value_kind:     hidden_remainder_z
      - .offset:         88
        .size:           8
        .value_kind:     hidden_global_offset_x
      - .offset:         96
        .size:           8
        .value_kind:     hidden_global_offset_y
      - .offset:         104
        .size:           8
        .value_kind:     hidden_global_offset_z
      - .offset:         112
        .size:           2
        .value_kind:     hidden_grid_dims
    .group_segment_fixed_size: 0
    .kernarg_segment_align: 8
    .kernarg_segment_size: 304
    .language:       OpenCL C
    .language_version:
      - 2
      - 0
    .max_flat_workgroup_size: 256
    .name:           _ZL40rocblas_copy_triangular_syrk_herk_kernelILb0ELb1ELb0E19rocblas_complex_numIfEPS1_Li16ELi16EEviT3_ilPT2_i
    .private_segment_fixed_size: 0
    .sgpr_count:     14
    .sgpr_spill_count: 0
    .symbol:         _ZL40rocblas_copy_triangular_syrk_herk_kernelILb0ELb1ELb0E19rocblas_complex_numIfEPS1_Li16ELi16EEviT3_ilPT2_i.kd
    .uniform_work_group_size: 1
    .uses_dynamic_stack: false
    .vgpr_count:     7
    .vgpr_spill_count: 0
    .wavefront_size: 64
  - .args:
      - .offset:         0
        .size:           4
        .value_kind:     by_value
      - .address_space:  global
        .offset:         8
        .size:           8
        .value_kind:     global_buffer
      - .offset:         16
        .size:           4
        .value_kind:     by_value
      - .offset:         24
        .size:           8
        .value_kind:     by_value
      - .address_space:  global
        .offset:         32
        .size:           8
        .value_kind:     global_buffer
      - .offset:         40
        .size:           4
        .value_kind:     by_value
      - .offset:         48
        .size:           4
        .value_kind:     hidden_block_count_x
      - .offset:         52
        .size:           4
        .value_kind:     hidden_block_count_y
      - .offset:         56
        .size:           4
        .value_kind:     hidden_block_count_z
      - .offset:         60
        .size:           2
        .value_kind:     hidden_group_size_x
      - .offset:         62
        .size:           2
        .value_kind:     hidden_group_size_y
      - .offset:         64
        .size:           2
        .value_kind:     hidden_group_size_z
      - .offset:         66
        .size:           2
        .value_kind:     hidden_remainder_x
      - .offset:         68
        .size:           2
        .value_kind:     hidden_remainder_y
      - .offset:         70
        .size:           2
        .value_kind:     hidden_remainder_z
      - .offset:         88
        .size:           8
        .value_kind:     hidden_global_offset_x
      - .offset:         96
        .size:           8
        .value_kind:     hidden_global_offset_y
      - .offset:         104
        .size:           8
        .value_kind:     hidden_global_offset_z
      - .offset:         112
        .size:           2
        .value_kind:     hidden_grid_dims
    .group_segment_fixed_size: 0
    .kernarg_segment_align: 8
    .kernarg_segment_size: 304
    .language:       OpenCL C
    .language_version:
      - 2
      - 0
    .max_flat_workgroup_size: 256
    .name:           _ZL40rocblas_copy_triangular_syrk_herk_kernelILb0ELb0ELb0E19rocblas_complex_numIfEPS1_Li16ELi16EEviT3_ilPT2_i
    .private_segment_fixed_size: 0
    .sgpr_count:     15
    .sgpr_spill_count: 0
    .symbol:         _ZL40rocblas_copy_triangular_syrk_herk_kernelILb0ELb0ELb0E19rocblas_complex_numIfEPS1_Li16ELi16EEviT3_ilPT2_i.kd
    .uniform_work_group_size: 1
    .uses_dynamic_stack: false
    .vgpr_count:     7
    .vgpr_spill_count: 0
    .wavefront_size: 64
  - .args:
      - .offset:         0
        .size:           4
        .value_kind:     by_value
      - .address_space:  global
        .offset:         8
        .size:           8
        .value_kind:     global_buffer
      - .offset:         16
        .size:           4
        .value_kind:     by_value
      - .offset:         24
        .size:           8
        .value_kind:     by_value
      - .address_space:  global
        .offset:         32
        .size:           8
        .value_kind:     global_buffer
      - .offset:         40
        .size:           4
        .value_kind:     by_value
      - .offset:         48
        .size:           4
        .value_kind:     hidden_block_count_x
      - .offset:         52
        .size:           4
        .value_kind:     hidden_block_count_y
      - .offset:         56
        .size:           4
        .value_kind:     hidden_block_count_z
      - .offset:         60
        .size:           2
        .value_kind:     hidden_group_size_x
      - .offset:         62
        .size:           2
        .value_kind:     hidden_group_size_y
      - .offset:         64
        .size:           2
        .value_kind:     hidden_group_size_z
      - .offset:         66
        .size:           2
        .value_kind:     hidden_remainder_x
      - .offset:         68
        .size:           2
        .value_kind:     hidden_remainder_y
      - .offset:         70
        .size:           2
        .value_kind:     hidden_remainder_z
      - .offset:         88
        .size:           8
        .value_kind:     hidden_global_offset_x
      - .offset:         96
        .size:           8
        .value_kind:     hidden_global_offset_y
      - .offset:         104
        .size:           8
        .value_kind:     hidden_global_offset_z
      - .offset:         112
        .size:           2
        .value_kind:     hidden_grid_dims
    .group_segment_fixed_size: 0
    .kernarg_segment_align: 8
    .kernarg_segment_size: 304
    .language:       OpenCL C
    .language_version:
      - 2
      - 0
    .max_flat_workgroup_size: 256
    .name:           _ZL40rocblas_copy_triangular_syrk_herk_kernelILb1ELb1ELb0E19rocblas_complex_numIdEPS1_Li16ELi16EEviT3_ilPT2_i
    .private_segment_fixed_size: 0
    .sgpr_count:     20
    .sgpr_spill_count: 0
    .symbol:         _ZL40rocblas_copy_triangular_syrk_herk_kernelILb1ELb1ELb0E19rocblas_complex_numIdEPS1_Li16ELi16EEviT3_ilPT2_i.kd
    .uniform_work_group_size: 1
    .uses_dynamic_stack: false
    .vgpr_count:     7
    .vgpr_spill_count: 0
    .wavefront_size: 64
  - .args:
      - .offset:         0
        .size:           4
        .value_kind:     by_value
      - .address_space:  global
        .offset:         8
        .size:           8
        .value_kind:     global_buffer
      - .offset:         16
        .size:           4
        .value_kind:     by_value
      - .offset:         24
        .size:           8
        .value_kind:     by_value
      - .address_space:  global
        .offset:         32
        .size:           8
        .value_kind:     global_buffer
      - .offset:         40
        .size:           4
        .value_kind:     by_value
      - .offset:         48
        .size:           4
        .value_kind:     hidden_block_count_x
      - .offset:         52
        .size:           4
        .value_kind:     hidden_block_count_y
      - .offset:         56
        .size:           4
        .value_kind:     hidden_block_count_z
      - .offset:         60
        .size:           2
        .value_kind:     hidden_group_size_x
      - .offset:         62
        .size:           2
        .value_kind:     hidden_group_size_y
      - .offset:         64
        .size:           2
        .value_kind:     hidden_group_size_z
      - .offset:         66
        .size:           2
        .value_kind:     hidden_remainder_x
      - .offset:         68
        .size:           2
        .value_kind:     hidden_remainder_y
      - .offset:         70
        .size:           2
        .value_kind:     hidden_remainder_z
      - .offset:         88
        .size:           8
        .value_kind:     hidden_global_offset_x
      - .offset:         96
        .size:           8
        .value_kind:     hidden_global_offset_y
      - .offset:         104
        .size:           8
        .value_kind:     hidden_global_offset_z
      - .offset:         112
        .size:           2
        .value_kind:     hidden_grid_dims
    .group_segment_fixed_size: 0
    .kernarg_segment_align: 8
    .kernarg_segment_size: 304
    .language:       OpenCL C
    .language_version:
      - 2
      - 0
    .max_flat_workgroup_size: 256
    .name:           _ZL40rocblas_copy_triangular_syrk_herk_kernelILb1ELb0ELb0E19rocblas_complex_numIdEPS1_Li16ELi16EEviT3_ilPT2_i
    .private_segment_fixed_size: 0
    .sgpr_count:     20
    .sgpr_spill_count: 0
    .symbol:         _ZL40rocblas_copy_triangular_syrk_herk_kernelILb1ELb0ELb0E19rocblas_complex_numIdEPS1_Li16ELi16EEviT3_ilPT2_i.kd
    .uniform_work_group_size: 1
    .uses_dynamic_stack: false
    .vgpr_count:     8
    .vgpr_spill_count: 0
    .wavefront_size: 64
  - .args:
      - .offset:         0
        .size:           4
        .value_kind:     by_value
      - .address_space:  global
        .offset:         8
        .size:           8
        .value_kind:     global_buffer
      - .offset:         16
        .size:           4
        .value_kind:     by_value
      - .offset:         24
        .size:           8
        .value_kind:     by_value
      - .address_space:  global
        .offset:         32
        .size:           8
        .value_kind:     global_buffer
      - .offset:         40
        .size:           4
        .value_kind:     by_value
      - .offset:         48
        .size:           4
        .value_kind:     hidden_block_count_x
      - .offset:         52
        .size:           4
        .value_kind:     hidden_block_count_y
      - .offset:         56
        .size:           4
        .value_kind:     hidden_block_count_z
      - .offset:         60
        .size:           2
        .value_kind:     hidden_group_size_x
      - .offset:         62
        .size:           2
        .value_kind:     hidden_group_size_y
      - .offset:         64
        .size:           2
        .value_kind:     hidden_group_size_z
      - .offset:         66
        .size:           2
        .value_kind:     hidden_remainder_x
      - .offset:         68
        .size:           2
        .value_kind:     hidden_remainder_y
      - .offset:         70
        .size:           2
        .value_kind:     hidden_remainder_z
      - .offset:         88
        .size:           8
        .value_kind:     hidden_global_offset_x
      - .offset:         96
        .size:           8
        .value_kind:     hidden_global_offset_y
      - .offset:         104
        .size:           8
        .value_kind:     hidden_global_offset_z
      - .offset:         112
        .size:           2
        .value_kind:     hidden_grid_dims
    .group_segment_fixed_size: 0
    .kernarg_segment_align: 8
    .kernarg_segment_size: 304
    .language:       OpenCL C
    .language_version:
      - 2
      - 0
    .max_flat_workgroup_size: 256
    .name:           _ZL40rocblas_copy_triangular_syrk_herk_kernelILb0ELb1ELb0E19rocblas_complex_numIdEPS1_Li16ELi16EEviT3_ilPT2_i
    .private_segment_fixed_size: 0
    .sgpr_count:     14
    .sgpr_spill_count: 0
    .symbol:         _ZL40rocblas_copy_triangular_syrk_herk_kernelILb0ELb1ELb0E19rocblas_complex_numIdEPS1_Li16ELi16EEviT3_ilPT2_i.kd
    .uniform_work_group_size: 1
    .uses_dynamic_stack: false
    .vgpr_count:     9
    .vgpr_spill_count: 0
    .wavefront_size: 64
  - .args:
      - .offset:         0
        .size:           4
        .value_kind:     by_value
      - .address_space:  global
        .offset:         8
        .size:           8
        .value_kind:     global_buffer
      - .offset:         16
        .size:           4
        .value_kind:     by_value
      - .offset:         24
        .size:           8
        .value_kind:     by_value
      - .address_space:  global
        .offset:         32
        .size:           8
        .value_kind:     global_buffer
      - .offset:         40
        .size:           4
        .value_kind:     by_value
      - .offset:         48
        .size:           4
        .value_kind:     hidden_block_count_x
      - .offset:         52
        .size:           4
        .value_kind:     hidden_block_count_y
      - .offset:         56
        .size:           4
        .value_kind:     hidden_block_count_z
      - .offset:         60
        .size:           2
        .value_kind:     hidden_group_size_x
      - .offset:         62
        .size:           2
        .value_kind:     hidden_group_size_y
      - .offset:         64
        .size:           2
        .value_kind:     hidden_group_size_z
      - .offset:         66
        .size:           2
        .value_kind:     hidden_remainder_x
      - .offset:         68
        .size:           2
        .value_kind:     hidden_remainder_y
      - .offset:         70
        .size:           2
        .value_kind:     hidden_remainder_z
      - .offset:         88
        .size:           8
        .value_kind:     hidden_global_offset_x
      - .offset:         96
        .size:           8
        .value_kind:     hidden_global_offset_y
      - .offset:         104
        .size:           8
        .value_kind:     hidden_global_offset_z
      - .offset:         112
        .size:           2
        .value_kind:     hidden_grid_dims
    .group_segment_fixed_size: 0
    .kernarg_segment_align: 8
    .kernarg_segment_size: 304
    .language:       OpenCL C
    .language_version:
      - 2
      - 0
    .max_flat_workgroup_size: 256
    .name:           _ZL40rocblas_copy_triangular_syrk_herk_kernelILb0ELb0ELb0E19rocblas_complex_numIdEPS1_Li16ELi16EEviT3_ilPT2_i
    .private_segment_fixed_size: 0
    .sgpr_count:     15
    .sgpr_spill_count: 0
    .symbol:         _ZL40rocblas_copy_triangular_syrk_herk_kernelILb0ELb0ELb0E19rocblas_complex_numIdEPS1_Li16ELi16EEviT3_ilPT2_i.kd
    .uniform_work_group_size: 1
    .uses_dynamic_stack: false
    .vgpr_count:     9
    .vgpr_spill_count: 0
    .wavefront_size: 64
  - .args:
      - .offset:         0
        .size:           4
        .value_kind:     by_value
      - .address_space:  global
        .offset:         8
        .size:           8
        .value_kind:     global_buffer
      - .offset:         16
        .size:           4
        .value_kind:     by_value
      - .offset:         24
        .size:           8
        .value_kind:     by_value
      - .address_space:  global
        .offset:         32
        .size:           8
        .value_kind:     global_buffer
      - .offset:         40
        .size:           4
        .value_kind:     by_value
      - .offset:         48
        .size:           4
        .value_kind:     hidden_block_count_x
      - .offset:         52
        .size:           4
        .value_kind:     hidden_block_count_y
      - .offset:         56
        .size:           4
        .value_kind:     hidden_block_count_z
      - .offset:         60
        .size:           2
        .value_kind:     hidden_group_size_x
      - .offset:         62
        .size:           2
        .value_kind:     hidden_group_size_y
      - .offset:         64
        .size:           2
        .value_kind:     hidden_group_size_z
      - .offset:         66
        .size:           2
        .value_kind:     hidden_remainder_x
      - .offset:         68
        .size:           2
        .value_kind:     hidden_remainder_y
      - .offset:         70
        .size:           2
        .value_kind:     hidden_remainder_z
      - .offset:         88
        .size:           8
        .value_kind:     hidden_global_offset_x
      - .offset:         96
        .size:           8
        .value_kind:     hidden_global_offset_y
      - .offset:         104
        .size:           8
        .value_kind:     hidden_global_offset_z
      - .offset:         112
        .size:           2
        .value_kind:     hidden_grid_dims
    .group_segment_fixed_size: 0
    .kernarg_segment_align: 8
    .kernarg_segment_size: 304
    .language:       OpenCL C
    .language_version:
      - 2
      - 0
    .max_flat_workgroup_size: 256
    .name:           _ZL40rocblas_copy_triangular_syrk_herk_kernelILb1ELb1ELb0EfPKPfLi16ELi16EEviT3_ilPT2_i
    .private_segment_fixed_size: 0
    .sgpr_count:     15
    .sgpr_spill_count: 0
    .symbol:         _ZL40rocblas_copy_triangular_syrk_herk_kernelILb1ELb1ELb0EfPKPfLi16ELi16EEviT3_ilPT2_i.kd
    .uniform_work_group_size: 1
    .uses_dynamic_stack: false
    .vgpr_count:     7
    .vgpr_spill_count: 0
    .wavefront_size: 64
  - .args:
      - .offset:         0
        .size:           4
        .value_kind:     by_value
      - .address_space:  global
        .offset:         8
        .size:           8
        .value_kind:     global_buffer
      - .offset:         16
        .size:           4
        .value_kind:     by_value
      - .offset:         24
        .size:           8
        .value_kind:     by_value
      - .address_space:  global
        .offset:         32
        .size:           8
        .value_kind:     global_buffer
      - .offset:         40
        .size:           4
        .value_kind:     by_value
      - .offset:         48
        .size:           4
        .value_kind:     hidden_block_count_x
      - .offset:         52
        .size:           4
        .value_kind:     hidden_block_count_y
      - .offset:         56
        .size:           4
        .value_kind:     hidden_block_count_z
      - .offset:         60
        .size:           2
        .value_kind:     hidden_group_size_x
      - .offset:         62
        .size:           2
        .value_kind:     hidden_group_size_y
      - .offset:         64
        .size:           2
        .value_kind:     hidden_group_size_z
      - .offset:         66
        .size:           2
        .value_kind:     hidden_remainder_x
      - .offset:         68
        .size:           2
        .value_kind:     hidden_remainder_y
      - .offset:         70
        .size:           2
        .value_kind:     hidden_remainder_z
      - .offset:         88
        .size:           8
        .value_kind:     hidden_global_offset_x
      - .offset:         96
        .size:           8
        .value_kind:     hidden_global_offset_y
      - .offset:         104
        .size:           8
        .value_kind:     hidden_global_offset_z
      - .offset:         112
        .size:           2
        .value_kind:     hidden_grid_dims
    .group_segment_fixed_size: 0
    .kernarg_segment_align: 8
    .kernarg_segment_size: 304
    .language:       OpenCL C
    .language_version:
      - 2
      - 0
    .max_flat_workgroup_size: 256
    .name:           _ZL40rocblas_copy_triangular_syrk_herk_kernelILb1ELb0ELb0EfPKPfLi16ELi16EEviT3_ilPT2_i
    .private_segment_fixed_size: 0
    .sgpr_count:     15
    .sgpr_spill_count: 0
    .symbol:         _ZL40rocblas_copy_triangular_syrk_herk_kernelILb1ELb0ELb0EfPKPfLi16ELi16EEviT3_ilPT2_i.kd
    .uniform_work_group_size: 1
    .uses_dynamic_stack: false
    .vgpr_count:     7
    .vgpr_spill_count: 0
    .wavefront_size: 64
  - .args:
      - .offset:         0
        .size:           4
        .value_kind:     by_value
      - .address_space:  global
        .offset:         8
        .size:           8
        .value_kind:     global_buffer
      - .offset:         16
        .size:           4
        .value_kind:     by_value
      - .offset:         24
        .size:           8
        .value_kind:     by_value
      - .address_space:  global
        .offset:         32
        .size:           8
        .value_kind:     global_buffer
      - .offset:         40
        .size:           4
        .value_kind:     by_value
      - .offset:         48
        .size:           4
        .value_kind:     hidden_block_count_x
      - .offset:         52
        .size:           4
        .value_kind:     hidden_block_count_y
      - .offset:         56
        .size:           4
        .value_kind:     hidden_block_count_z
      - .offset:         60
        .size:           2
        .value_kind:     hidden_group_size_x
      - .offset:         62
        .size:           2
        .value_kind:     hidden_group_size_y
      - .offset:         64
        .size:           2
        .value_kind:     hidden_group_size_z
      - .offset:         66
        .size:           2
        .value_kind:     hidden_remainder_x
      - .offset:         68
        .size:           2
        .value_kind:     hidden_remainder_y
      - .offset:         70
        .size:           2
        .value_kind:     hidden_remainder_z
      - .offset:         88
        .size:           8
        .value_kind:     hidden_global_offset_x
      - .offset:         96
        .size:           8
        .value_kind:     hidden_global_offset_y
      - .offset:         104
        .size:           8
        .value_kind:     hidden_global_offset_z
      - .offset:         112
        .size:           2
        .value_kind:     hidden_grid_dims
    .group_segment_fixed_size: 0
    .kernarg_segment_align: 8
    .kernarg_segment_size: 304
    .language:       OpenCL C
    .language_version:
      - 2
      - 0
    .max_flat_workgroup_size: 256
    .name:           _ZL40rocblas_copy_triangular_syrk_herk_kernelILb0ELb1ELb0EfPKPfLi16ELi16EEviT3_ilPT2_i
    .private_segment_fixed_size: 0
    .sgpr_count:     14
    .sgpr_spill_count: 0
    .symbol:         _ZL40rocblas_copy_triangular_syrk_herk_kernelILb0ELb1ELb0EfPKPfLi16ELi16EEviT3_ilPT2_i.kd
    .uniform_work_group_size: 1
    .uses_dynamic_stack: false
    .vgpr_count:     6
    .vgpr_spill_count: 0
    .wavefront_size: 64
  - .args:
      - .offset:         0
        .size:           4
        .value_kind:     by_value
      - .address_space:  global
        .offset:         8
        .size:           8
        .value_kind:     global_buffer
      - .offset:         16
        .size:           4
        .value_kind:     by_value
      - .offset:         24
        .size:           8
        .value_kind:     by_value
      - .address_space:  global
        .offset:         32
        .size:           8
        .value_kind:     global_buffer
      - .offset:         40
        .size:           4
        .value_kind:     by_value
      - .offset:         48
        .size:           4
        .value_kind:     hidden_block_count_x
      - .offset:         52
        .size:           4
        .value_kind:     hidden_block_count_y
      - .offset:         56
        .size:           4
        .value_kind:     hidden_block_count_z
      - .offset:         60
        .size:           2
        .value_kind:     hidden_group_size_x
      - .offset:         62
        .size:           2
        .value_kind:     hidden_group_size_y
      - .offset:         64
        .size:           2
        .value_kind:     hidden_group_size_z
      - .offset:         66
        .size:           2
        .value_kind:     hidden_remainder_x
      - .offset:         68
        .size:           2
        .value_kind:     hidden_remainder_y
      - .offset:         70
        .size:           2
        .value_kind:     hidden_remainder_z
      - .offset:         88
        .size:           8
        .value_kind:     hidden_global_offset_x
      - .offset:         96
        .size:           8
        .value_kind:     hidden_global_offset_y
      - .offset:         104
        .size:           8
        .value_kind:     hidden_global_offset_z
      - .offset:         112
        .size:           2
        .value_kind:     hidden_grid_dims
    .group_segment_fixed_size: 0
    .kernarg_segment_align: 8
    .kernarg_segment_size: 304
    .language:       OpenCL C
    .language_version:
      - 2
      - 0
    .max_flat_workgroup_size: 256
    .name:           _ZL40rocblas_copy_triangular_syrk_herk_kernelILb0ELb0ELb0EfPKPfLi16ELi16EEviT3_ilPT2_i
    .private_segment_fixed_size: 0
    .sgpr_count:     14
    .sgpr_spill_count: 0
    .symbol:         _ZL40rocblas_copy_triangular_syrk_herk_kernelILb0ELb0ELb0EfPKPfLi16ELi16EEviT3_ilPT2_i.kd
    .uniform_work_group_size: 1
    .uses_dynamic_stack: false
    .vgpr_count:     6
    .vgpr_spill_count: 0
    .wavefront_size: 64
  - .args:
      - .offset:         0
        .size:           4
        .value_kind:     by_value
      - .address_space:  global
        .offset:         8
        .size:           8
        .value_kind:     global_buffer
      - .offset:         16
        .size:           4
        .value_kind:     by_value
      - .offset:         24
        .size:           8
        .value_kind:     by_value
      - .address_space:  global
        .offset:         32
        .size:           8
        .value_kind:     global_buffer
      - .offset:         40
        .size:           4
        .value_kind:     by_value
      - .offset:         48
        .size:           4
        .value_kind:     hidden_block_count_x
      - .offset:         52
        .size:           4
        .value_kind:     hidden_block_count_y
      - .offset:         56
        .size:           4
        .value_kind:     hidden_block_count_z
      - .offset:         60
        .size:           2
        .value_kind:     hidden_group_size_x
      - .offset:         62
        .size:           2
        .value_kind:     hidden_group_size_y
      - .offset:         64
        .size:           2
        .value_kind:     hidden_group_size_z
      - .offset:         66
        .size:           2
        .value_kind:     hidden_remainder_x
      - .offset:         68
        .size:           2
        .value_kind:     hidden_remainder_y
      - .offset:         70
        .size:           2
        .value_kind:     hidden_remainder_z
      - .offset:         88
        .size:           8
        .value_kind:     hidden_global_offset_x
      - .offset:         96
        .size:           8
        .value_kind:     hidden_global_offset_y
      - .offset:         104
        .size:           8
        .value_kind:     hidden_global_offset_z
      - .offset:         112
        .size:           2
        .value_kind:     hidden_grid_dims
    .group_segment_fixed_size: 0
    .kernarg_segment_align: 8
    .kernarg_segment_size: 304
    .language:       OpenCL C
    .language_version:
      - 2
      - 0
    .max_flat_workgroup_size: 256
    .name:           _ZL40rocblas_copy_triangular_syrk_herk_kernelILb1ELb1ELb0EdPKPdLi16ELi16EEviT3_ilPT2_i
    .private_segment_fixed_size: 0
    .sgpr_count:     15
    .sgpr_spill_count: 0
    .symbol:         _ZL40rocblas_copy_triangular_syrk_herk_kernelILb1ELb1ELb0EdPKPdLi16ELi16EEviT3_ilPT2_i.kd
    .uniform_work_group_size: 1
    .uses_dynamic_stack: false
    .vgpr_count:     7
    .vgpr_spill_count: 0
    .wavefront_size: 64
  - .args:
      - .offset:         0
        .size:           4
        .value_kind:     by_value
      - .address_space:  global
        .offset:         8
        .size:           8
        .value_kind:     global_buffer
      - .offset:         16
        .size:           4
        .value_kind:     by_value
      - .offset:         24
        .size:           8
        .value_kind:     by_value
      - .address_space:  global
        .offset:         32
        .size:           8
        .value_kind:     global_buffer
      - .offset:         40
        .size:           4
        .value_kind:     by_value
      - .offset:         48
        .size:           4
        .value_kind:     hidden_block_count_x
      - .offset:         52
        .size:           4
        .value_kind:     hidden_block_count_y
      - .offset:         56
        .size:           4
        .value_kind:     hidden_block_count_z
      - .offset:         60
        .size:           2
        .value_kind:     hidden_group_size_x
      - .offset:         62
        .size:           2
        .value_kind:     hidden_group_size_y
      - .offset:         64
        .size:           2
        .value_kind:     hidden_group_size_z
      - .offset:         66
        .size:           2
        .value_kind:     hidden_remainder_x
      - .offset:         68
        .size:           2
        .value_kind:     hidden_remainder_y
      - .offset:         70
        .size:           2
        .value_kind:     hidden_remainder_z
      - .offset:         88
        .size:           8
        .value_kind:     hidden_global_offset_x
      - .offset:         96
        .size:           8
        .value_kind:     hidden_global_offset_y
      - .offset:         104
        .size:           8
        .value_kind:     hidden_global_offset_z
      - .offset:         112
        .size:           2
        .value_kind:     hidden_grid_dims
    .group_segment_fixed_size: 0
    .kernarg_segment_align: 8
    .kernarg_segment_size: 304
    .language:       OpenCL C
    .language_version:
      - 2
      - 0
    .max_flat_workgroup_size: 256
    .name:           _ZL40rocblas_copy_triangular_syrk_herk_kernelILb1ELb0ELb0EdPKPdLi16ELi16EEviT3_ilPT2_i
    .private_segment_fixed_size: 0
    .sgpr_count:     15
    .sgpr_spill_count: 0
    .symbol:         _ZL40rocblas_copy_triangular_syrk_herk_kernelILb1ELb0ELb0EdPKPdLi16ELi16EEviT3_ilPT2_i.kd
    .uniform_work_group_size: 1
    .uses_dynamic_stack: false
    .vgpr_count:     7
    .vgpr_spill_count: 0
    .wavefront_size: 64
  - .args:
      - .offset:         0
        .size:           4
        .value_kind:     by_value
      - .address_space:  global
        .offset:         8
        .size:           8
        .value_kind:     global_buffer
      - .offset:         16
        .size:           4
        .value_kind:     by_value
      - .offset:         24
        .size:           8
        .value_kind:     by_value
      - .address_space:  global
        .offset:         32
        .size:           8
        .value_kind:     global_buffer
      - .offset:         40
        .size:           4
        .value_kind:     by_value
      - .offset:         48
        .size:           4
        .value_kind:     hidden_block_count_x
      - .offset:         52
        .size:           4
        .value_kind:     hidden_block_count_y
      - .offset:         56
        .size:           4
        .value_kind:     hidden_block_count_z
      - .offset:         60
        .size:           2
        .value_kind:     hidden_group_size_x
      - .offset:         62
        .size:           2
        .value_kind:     hidden_group_size_y
      - .offset:         64
        .size:           2
        .value_kind:     hidden_group_size_z
      - .offset:         66
        .size:           2
        .value_kind:     hidden_remainder_x
      - .offset:         68
        .size:           2
        .value_kind:     hidden_remainder_y
      - .offset:         70
        .size:           2
        .value_kind:     hidden_remainder_z
      - .offset:         88
        .size:           8
        .value_kind:     hidden_global_offset_x
      - .offset:         96
        .size:           8
        .value_kind:     hidden_global_offset_y
      - .offset:         104
        .size:           8
        .value_kind:     hidden_global_offset_z
      - .offset:         112
        .size:           2
        .value_kind:     hidden_grid_dims
    .group_segment_fixed_size: 0
    .kernarg_segment_align: 8
    .kernarg_segment_size: 304
    .language:       OpenCL C
    .language_version:
      - 2
      - 0
    .max_flat_workgroup_size: 256
    .name:           _ZL40rocblas_copy_triangular_syrk_herk_kernelILb0ELb1ELb0EdPKPdLi16ELi16EEviT3_ilPT2_i
    .private_segment_fixed_size: 0
    .sgpr_count:     14
    .sgpr_spill_count: 0
    .symbol:         _ZL40rocblas_copy_triangular_syrk_herk_kernelILb0ELb1ELb0EdPKPdLi16ELi16EEviT3_ilPT2_i.kd
    .uniform_work_group_size: 1
    .uses_dynamic_stack: false
    .vgpr_count:     7
    .vgpr_spill_count: 0
    .wavefront_size: 64
  - .args:
      - .offset:         0
        .size:           4
        .value_kind:     by_value
      - .address_space:  global
        .offset:         8
        .size:           8
        .value_kind:     global_buffer
      - .offset:         16
        .size:           4
        .value_kind:     by_value
      - .offset:         24
        .size:           8
        .value_kind:     by_value
      - .address_space:  global
        .offset:         32
        .size:           8
        .value_kind:     global_buffer
      - .offset:         40
        .size:           4
        .value_kind:     by_value
      - .offset:         48
        .size:           4
        .value_kind:     hidden_block_count_x
      - .offset:         52
        .size:           4
        .value_kind:     hidden_block_count_y
      - .offset:         56
        .size:           4
        .value_kind:     hidden_block_count_z
      - .offset:         60
        .size:           2
        .value_kind:     hidden_group_size_x
      - .offset:         62
        .size:           2
        .value_kind:     hidden_group_size_y
      - .offset:         64
        .size:           2
        .value_kind:     hidden_group_size_z
      - .offset:         66
        .size:           2
        .value_kind:     hidden_remainder_x
      - .offset:         68
        .size:           2
        .value_kind:     hidden_remainder_y
      - .offset:         70
        .size:           2
        .value_kind:     hidden_remainder_z
      - .offset:         88
        .size:           8
        .value_kind:     hidden_global_offset_x
      - .offset:         96
        .size:           8
        .value_kind:     hidden_global_offset_y
      - .offset:         104
        .size:           8
        .value_kind:     hidden_global_offset_z
      - .offset:         112
        .size:           2
        .value_kind:     hidden_grid_dims
    .group_segment_fixed_size: 0
    .kernarg_segment_align: 8
    .kernarg_segment_size: 304
    .language:       OpenCL C
    .language_version:
      - 2
      - 0
    .max_flat_workgroup_size: 256
    .name:           _ZL40rocblas_copy_triangular_syrk_herk_kernelILb0ELb0ELb0EdPKPdLi16ELi16EEviT3_ilPT2_i
    .private_segment_fixed_size: 0
    .sgpr_count:     14
    .sgpr_spill_count: 0
    .symbol:         _ZL40rocblas_copy_triangular_syrk_herk_kernelILb0ELb0ELb0EdPKPdLi16ELi16EEviT3_ilPT2_i.kd
    .uniform_work_group_size: 1
    .uses_dynamic_stack: false
    .vgpr_count:     7
    .vgpr_spill_count: 0
    .wavefront_size: 64
  - .args:
      - .offset:         0
        .size:           4
        .value_kind:     by_value
      - .address_space:  global
        .offset:         8
        .size:           8
        .value_kind:     global_buffer
      - .offset:         16
        .size:           4
        .value_kind:     by_value
      - .offset:         24
        .size:           8
        .value_kind:     by_value
      - .address_space:  global
        .offset:         32
        .size:           8
        .value_kind:     global_buffer
      - .offset:         40
        .size:           4
        .value_kind:     by_value
      - .offset:         48
        .size:           4
        .value_kind:     hidden_block_count_x
      - .offset:         52
        .size:           4
        .value_kind:     hidden_block_count_y
      - .offset:         56
        .size:           4
        .value_kind:     hidden_block_count_z
      - .offset:         60
        .size:           2
        .value_kind:     hidden_group_size_x
      - .offset:         62
        .size:           2
        .value_kind:     hidden_group_size_y
      - .offset:         64
        .size:           2
        .value_kind:     hidden_group_size_z
      - .offset:         66
        .size:           2
        .value_kind:     hidden_remainder_x
      - .offset:         68
        .size:           2
        .value_kind:     hidden_remainder_y
      - .offset:         70
        .size:           2
        .value_kind:     hidden_remainder_z
      - .offset:         88
        .size:           8
        .value_kind:     hidden_global_offset_x
      - .offset:         96
        .size:           8
        .value_kind:     hidden_global_offset_y
      - .offset:         104
        .size:           8
        .value_kind:     hidden_global_offset_z
      - .offset:         112
        .size:           2
        .value_kind:     hidden_grid_dims
    .group_segment_fixed_size: 0
    .kernarg_segment_align: 8
    .kernarg_segment_size: 304
    .language:       OpenCL C
    .language_version:
      - 2
      - 0
    .max_flat_workgroup_size: 256
    .name:           _ZL40rocblas_copy_triangular_syrk_herk_kernelILb1ELb1ELb0E19rocblas_complex_numIfEPKPS1_Li16ELi16EEviT3_ilPT2_i
    .private_segment_fixed_size: 0
    .sgpr_count:     15
    .sgpr_spill_count: 0
    .symbol:         _ZL40rocblas_copy_triangular_syrk_herk_kernelILb1ELb1ELb0E19rocblas_complex_numIfEPKPS1_Li16ELi16EEviT3_ilPT2_i.kd
    .uniform_work_group_size: 1
    .uses_dynamic_stack: false
    .vgpr_count:     7
    .vgpr_spill_count: 0
    .wavefront_size: 64
  - .args:
      - .offset:         0
        .size:           4
        .value_kind:     by_value
      - .address_space:  global
        .offset:         8
        .size:           8
        .value_kind:     global_buffer
      - .offset:         16
        .size:           4
        .value_kind:     by_value
      - .offset:         24
        .size:           8
        .value_kind:     by_value
      - .address_space:  global
        .offset:         32
        .size:           8
        .value_kind:     global_buffer
      - .offset:         40
        .size:           4
        .value_kind:     by_value
      - .offset:         48
        .size:           4
        .value_kind:     hidden_block_count_x
      - .offset:         52
        .size:           4
        .value_kind:     hidden_block_count_y
      - .offset:         56
        .size:           4
        .value_kind:     hidden_block_count_z
      - .offset:         60
        .size:           2
        .value_kind:     hidden_group_size_x
      - .offset:         62
        .size:           2
        .value_kind:     hidden_group_size_y
      - .offset:         64
        .size:           2
        .value_kind:     hidden_group_size_z
      - .offset:         66
        .size:           2
        .value_kind:     hidden_remainder_x
      - .offset:         68
        .size:           2
        .value_kind:     hidden_remainder_y
      - .offset:         70
        .size:           2
        .value_kind:     hidden_remainder_z
      - .offset:         88
        .size:           8
        .value_kind:     hidden_global_offset_x
      - .offset:         96
        .size:           8
        .value_kind:     hidden_global_offset_y
      - .offset:         104
        .size:           8
        .value_kind:     hidden_global_offset_z
      - .offset:         112
        .size:           2
        .value_kind:     hidden_grid_dims
    .group_segment_fixed_size: 0
    .kernarg_segment_align: 8
    .kernarg_segment_size: 304
    .language:       OpenCL C
    .language_version:
      - 2
      - 0
    .max_flat_workgroup_size: 256
    .name:           _ZL40rocblas_copy_triangular_syrk_herk_kernelILb1ELb0ELb0E19rocblas_complex_numIfEPKPS1_Li16ELi16EEviT3_ilPT2_i
    .private_segment_fixed_size: 0
    .sgpr_count:     15
    .sgpr_spill_count: 0
    .symbol:         _ZL40rocblas_copy_triangular_syrk_herk_kernelILb1ELb0ELb0E19rocblas_complex_numIfEPKPS1_Li16ELi16EEviT3_ilPT2_i.kd
    .uniform_work_group_size: 1
    .uses_dynamic_stack: false
    .vgpr_count:     7
    .vgpr_spill_count: 0
    .wavefront_size: 64
  - .args:
      - .offset:         0
        .size:           4
        .value_kind:     by_value
      - .address_space:  global
        .offset:         8
        .size:           8
        .value_kind:     global_buffer
      - .offset:         16
        .size:           4
        .value_kind:     by_value
      - .offset:         24
        .size:           8
        .value_kind:     by_value
      - .address_space:  global
        .offset:         32
        .size:           8
        .value_kind:     global_buffer
      - .offset:         40
        .size:           4
        .value_kind:     by_value
      - .offset:         48
        .size:           4
        .value_kind:     hidden_block_count_x
      - .offset:         52
        .size:           4
        .value_kind:     hidden_block_count_y
      - .offset:         56
        .size:           4
        .value_kind:     hidden_block_count_z
      - .offset:         60
        .size:           2
        .value_kind:     hidden_group_size_x
      - .offset:         62
        .size:           2
        .value_kind:     hidden_group_size_y
      - .offset:         64
        .size:           2
        .value_kind:     hidden_group_size_z
      - .offset:         66
        .size:           2
        .value_kind:     hidden_remainder_x
      - .offset:         68
        .size:           2
        .value_kind:     hidden_remainder_y
      - .offset:         70
        .size:           2
        .value_kind:     hidden_remainder_z
      - .offset:         88
        .size:           8
        .value_kind:     hidden_global_offset_x
      - .offset:         96
        .size:           8
        .value_kind:     hidden_global_offset_y
      - .offset:         104
        .size:           8
        .value_kind:     hidden_global_offset_z
      - .offset:         112
        .size:           2
        .value_kind:     hidden_grid_dims
    .group_segment_fixed_size: 0
    .kernarg_segment_align: 8
    .kernarg_segment_size: 304
    .language:       OpenCL C
    .language_version:
      - 2
      - 0
    .max_flat_workgroup_size: 256
    .name:           _ZL40rocblas_copy_triangular_syrk_herk_kernelILb0ELb1ELb0E19rocblas_complex_numIfEPKPS1_Li16ELi16EEviT3_ilPT2_i
    .private_segment_fixed_size: 0
    .sgpr_count:     14
    .sgpr_spill_count: 0
    .symbol:         _ZL40rocblas_copy_triangular_syrk_herk_kernelILb0ELb1ELb0E19rocblas_complex_numIfEPKPS1_Li16ELi16EEviT3_ilPT2_i.kd
    .uniform_work_group_size: 1
    .uses_dynamic_stack: false
    .vgpr_count:     7
    .vgpr_spill_count: 0
    .wavefront_size: 64
  - .args:
      - .offset:         0
        .size:           4
        .value_kind:     by_value
      - .address_space:  global
        .offset:         8
        .size:           8
        .value_kind:     global_buffer
      - .offset:         16
        .size:           4
        .value_kind:     by_value
      - .offset:         24
        .size:           8
        .value_kind:     by_value
      - .address_space:  global
        .offset:         32
        .size:           8
        .value_kind:     global_buffer
      - .offset:         40
        .size:           4
        .value_kind:     by_value
      - .offset:         48
        .size:           4
        .value_kind:     hidden_block_count_x
      - .offset:         52
        .size:           4
        .value_kind:     hidden_block_count_y
      - .offset:         56
        .size:           4
        .value_kind:     hidden_block_count_z
      - .offset:         60
        .size:           2
        .value_kind:     hidden_group_size_x
      - .offset:         62
        .size:           2
        .value_kind:     hidden_group_size_y
      - .offset:         64
        .size:           2
        .value_kind:     hidden_group_size_z
      - .offset:         66
        .size:           2
        .value_kind:     hidden_remainder_x
      - .offset:         68
        .size:           2
        .value_kind:     hidden_remainder_y
      - .offset:         70
        .size:           2
        .value_kind:     hidden_remainder_z
      - .offset:         88
        .size:           8
        .value_kind:     hidden_global_offset_x
      - .offset:         96
        .size:           8
        .value_kind:     hidden_global_offset_y
      - .offset:         104
        .size:           8
        .value_kind:     hidden_global_offset_z
      - .offset:         112
        .size:           2
        .value_kind:     hidden_grid_dims
    .group_segment_fixed_size: 0
    .kernarg_segment_align: 8
    .kernarg_segment_size: 304
    .language:       OpenCL C
    .language_version:
      - 2
      - 0
    .max_flat_workgroup_size: 256
    .name:           _ZL40rocblas_copy_triangular_syrk_herk_kernelILb0ELb0ELb0E19rocblas_complex_numIfEPKPS1_Li16ELi16EEviT3_ilPT2_i
    .private_segment_fixed_size: 0
    .sgpr_count:     14
    .sgpr_spill_count: 0
    .symbol:         _ZL40rocblas_copy_triangular_syrk_herk_kernelILb0ELb0ELb0E19rocblas_complex_numIfEPKPS1_Li16ELi16EEviT3_ilPT2_i.kd
    .uniform_work_group_size: 1
    .uses_dynamic_stack: false
    .vgpr_count:     7
    .vgpr_spill_count: 0
    .wavefront_size: 64
  - .args:
      - .offset:         0
        .size:           4
        .value_kind:     by_value
      - .address_space:  global
        .offset:         8
        .size:           8
        .value_kind:     global_buffer
      - .offset:         16
        .size:           4
        .value_kind:     by_value
      - .offset:         24
        .size:           8
        .value_kind:     by_value
      - .address_space:  global
        .offset:         32
        .size:           8
        .value_kind:     global_buffer
      - .offset:         40
        .size:           4
        .value_kind:     by_value
      - .offset:         48
        .size:           4
        .value_kind:     hidden_block_count_x
      - .offset:         52
        .size:           4
        .value_kind:     hidden_block_count_y
      - .offset:         56
        .size:           4
        .value_kind:     hidden_block_count_z
      - .offset:         60
        .size:           2
        .value_kind:     hidden_group_size_x
      - .offset:         62
        .size:           2
        .value_kind:     hidden_group_size_y
      - .offset:         64
        .size:           2
        .value_kind:     hidden_group_size_z
      - .offset:         66
        .size:           2
        .value_kind:     hidden_remainder_x
      - .offset:         68
        .size:           2
        .value_kind:     hidden_remainder_y
      - .offset:         70
        .size:           2
        .value_kind:     hidden_remainder_z
      - .offset:         88
        .size:           8
        .value_kind:     hidden_global_offset_x
      - .offset:         96
        .size:           8
        .value_kind:     hidden_global_offset_y
      - .offset:         104
        .size:           8
        .value_kind:     hidden_global_offset_z
      - .offset:         112
        .size:           2
        .value_kind:     hidden_grid_dims
    .group_segment_fixed_size: 0
    .kernarg_segment_align: 8
    .kernarg_segment_size: 304
    .language:       OpenCL C
    .language_version:
      - 2
      - 0
    .max_flat_workgroup_size: 256
    .name:           _ZL40rocblas_copy_triangular_syrk_herk_kernelILb1ELb1ELb0E19rocblas_complex_numIdEPKPS1_Li16ELi16EEviT3_ilPT2_i
    .private_segment_fixed_size: 0
    .sgpr_count:     15
    .sgpr_spill_count: 0
    .symbol:         _ZL40rocblas_copy_triangular_syrk_herk_kernelILb1ELb1ELb0E19rocblas_complex_numIdEPKPS1_Li16ELi16EEviT3_ilPT2_i.kd
    .uniform_work_group_size: 1
    .uses_dynamic_stack: false
    .vgpr_count:     7
    .vgpr_spill_count: 0
    .wavefront_size: 64
  - .args:
      - .offset:         0
        .size:           4
        .value_kind:     by_value
      - .address_space:  global
        .offset:         8
        .size:           8
        .value_kind:     global_buffer
      - .offset:         16
        .size:           4
        .value_kind:     by_value
      - .offset:         24
        .size:           8
        .value_kind:     by_value
      - .address_space:  global
        .offset:         32
        .size:           8
        .value_kind:     global_buffer
      - .offset:         40
        .size:           4
        .value_kind:     by_value
      - .offset:         48
        .size:           4
        .value_kind:     hidden_block_count_x
      - .offset:         52
        .size:           4
        .value_kind:     hidden_block_count_y
      - .offset:         56
        .size:           4
        .value_kind:     hidden_block_count_z
      - .offset:         60
        .size:           2
        .value_kind:     hidden_group_size_x
      - .offset:         62
        .size:           2
        .value_kind:     hidden_group_size_y
      - .offset:         64
        .size:           2
        .value_kind:     hidden_group_size_z
      - .offset:         66
        .size:           2
        .value_kind:     hidden_remainder_x
      - .offset:         68
        .size:           2
        .value_kind:     hidden_remainder_y
      - .offset:         70
        .size:           2
        .value_kind:     hidden_remainder_z
      - .offset:         88
        .size:           8
        .value_kind:     hidden_global_offset_x
      - .offset:         96
        .size:           8
        .value_kind:     hidden_global_offset_y
      - .offset:         104
        .size:           8
        .value_kind:     hidden_global_offset_z
      - .offset:         112
        .size:           2
        .value_kind:     hidden_grid_dims
    .group_segment_fixed_size: 0
    .kernarg_segment_align: 8
    .kernarg_segment_size: 304
    .language:       OpenCL C
    .language_version:
      - 2
      - 0
    .max_flat_workgroup_size: 256
    .name:           _ZL40rocblas_copy_triangular_syrk_herk_kernelILb1ELb0ELb0E19rocblas_complex_numIdEPKPS1_Li16ELi16EEviT3_ilPT2_i
    .private_segment_fixed_size: 0
    .sgpr_count:     15
    .sgpr_spill_count: 0
    .symbol:         _ZL40rocblas_copy_triangular_syrk_herk_kernelILb1ELb0ELb0E19rocblas_complex_numIdEPKPS1_Li16ELi16EEviT3_ilPT2_i.kd
    .uniform_work_group_size: 1
    .uses_dynamic_stack: false
    .vgpr_count:     8
    .vgpr_spill_count: 0
    .wavefront_size: 64
  - .args:
      - .offset:         0
        .size:           4
        .value_kind:     by_value
      - .address_space:  global
        .offset:         8
        .size:           8
        .value_kind:     global_buffer
      - .offset:         16
        .size:           4
        .value_kind:     by_value
      - .offset:         24
        .size:           8
        .value_kind:     by_value
      - .address_space:  global
        .offset:         32
        .size:           8
        .value_kind:     global_buffer
      - .offset:         40
        .size:           4
        .value_kind:     by_value
      - .offset:         48
        .size:           4
        .value_kind:     hidden_block_count_x
      - .offset:         52
        .size:           4
        .value_kind:     hidden_block_count_y
      - .offset:         56
        .size:           4
        .value_kind:     hidden_block_count_z
      - .offset:         60
        .size:           2
        .value_kind:     hidden_group_size_x
      - .offset:         62
        .size:           2
        .value_kind:     hidden_group_size_y
      - .offset:         64
        .size:           2
        .value_kind:     hidden_group_size_z
      - .offset:         66
        .size:           2
        .value_kind:     hidden_remainder_x
      - .offset:         68
        .size:           2
        .value_kind:     hidden_remainder_y
      - .offset:         70
        .size:           2
        .value_kind:     hidden_remainder_z
      - .offset:         88
        .size:           8
        .value_kind:     hidden_global_offset_x
      - .offset:         96
        .size:           8
        .value_kind:     hidden_global_offset_y
      - .offset:         104
        .size:           8
        .value_kind:     hidden_global_offset_z
      - .offset:         112
        .size:           2
        .value_kind:     hidden_grid_dims
    .group_segment_fixed_size: 0
    .kernarg_segment_align: 8
    .kernarg_segment_size: 304
    .language:       OpenCL C
    .language_version:
      - 2
      - 0
    .max_flat_workgroup_size: 256
    .name:           _ZL40rocblas_copy_triangular_syrk_herk_kernelILb0ELb1ELb0E19rocblas_complex_numIdEPKPS1_Li16ELi16EEviT3_ilPT2_i
    .private_segment_fixed_size: 0
    .sgpr_count:     14
    .sgpr_spill_count: 0
    .symbol:         _ZL40rocblas_copy_triangular_syrk_herk_kernelILb0ELb1ELb0E19rocblas_complex_numIdEPKPS1_Li16ELi16EEviT3_ilPT2_i.kd
    .uniform_work_group_size: 1
    .uses_dynamic_stack: false
    .vgpr_count:     9
    .vgpr_spill_count: 0
    .wavefront_size: 64
  - .args:
      - .offset:         0
        .size:           4
        .value_kind:     by_value
      - .address_space:  global
        .offset:         8
        .size:           8
        .value_kind:     global_buffer
      - .offset:         16
        .size:           4
        .value_kind:     by_value
      - .offset:         24
        .size:           8
        .value_kind:     by_value
      - .address_space:  global
        .offset:         32
        .size:           8
        .value_kind:     global_buffer
      - .offset:         40
        .size:           4
        .value_kind:     by_value
      - .offset:         48
        .size:           4
        .value_kind:     hidden_block_count_x
      - .offset:         52
        .size:           4
        .value_kind:     hidden_block_count_y
      - .offset:         56
        .size:           4
        .value_kind:     hidden_block_count_z
      - .offset:         60
        .size:           2
        .value_kind:     hidden_group_size_x
      - .offset:         62
        .size:           2
        .value_kind:     hidden_group_size_y
      - .offset:         64
        .size:           2
        .value_kind:     hidden_group_size_z
      - .offset:         66
        .size:           2
        .value_kind:     hidden_remainder_x
      - .offset:         68
        .size:           2
        .value_kind:     hidden_remainder_y
      - .offset:         70
        .size:           2
        .value_kind:     hidden_remainder_z
      - .offset:         88
        .size:           8
        .value_kind:     hidden_global_offset_x
      - .offset:         96
        .size:           8
        .value_kind:     hidden_global_offset_y
      - .offset:         104
        .size:           8
        .value_kind:     hidden_global_offset_z
      - .offset:         112
        .size:           2
        .value_kind:     hidden_grid_dims
    .group_segment_fixed_size: 0
    .kernarg_segment_align: 8
    .kernarg_segment_size: 304
    .language:       OpenCL C
    .language_version:
      - 2
      - 0
    .max_flat_workgroup_size: 256
    .name:           _ZL40rocblas_copy_triangular_syrk_herk_kernelILb0ELb0ELb0E19rocblas_complex_numIdEPKPS1_Li16ELi16EEviT3_ilPT2_i
    .private_segment_fixed_size: 0
    .sgpr_count:     14
    .sgpr_spill_count: 0
    .symbol:         _ZL40rocblas_copy_triangular_syrk_herk_kernelILb0ELb0ELb0E19rocblas_complex_numIdEPKPS1_Li16ELi16EEviT3_ilPT2_i.kd
    .uniform_work_group_size: 1
    .uses_dynamic_stack: false
    .vgpr_count:     9
    .vgpr_spill_count: 0
    .wavefront_size: 64
  - .args:
      - .offset:         0
        .size:           4
        .value_kind:     by_value
      - .address_space:  global
        .offset:         8
        .size:           8
        .value_kind:     global_buffer
      - .offset:         16
        .size:           4
        .value_kind:     by_value
      - .offset:         24
        .size:           8
        .value_kind:     by_value
      - .address_space:  global
        .offset:         32
        .size:           8
        .value_kind:     global_buffer
      - .offset:         40
        .size:           4
        .value_kind:     by_value
      - .offset:         48
        .size:           4
        .value_kind:     hidden_block_count_x
      - .offset:         52
        .size:           4
        .value_kind:     hidden_block_count_y
      - .offset:         56
        .size:           4
        .value_kind:     hidden_block_count_z
      - .offset:         60
        .size:           2
        .value_kind:     hidden_group_size_x
      - .offset:         62
        .size:           2
        .value_kind:     hidden_group_size_y
      - .offset:         64
        .size:           2
        .value_kind:     hidden_group_size_z
      - .offset:         66
        .size:           2
        .value_kind:     hidden_remainder_x
      - .offset:         68
        .size:           2
        .value_kind:     hidden_remainder_y
      - .offset:         70
        .size:           2
        .value_kind:     hidden_remainder_z
      - .offset:         88
        .size:           8
        .value_kind:     hidden_global_offset_x
      - .offset:         96
        .size:           8
        .value_kind:     hidden_global_offset_y
      - .offset:         104
        .size:           8
        .value_kind:     hidden_global_offset_z
      - .offset:         112
        .size:           2
        .value_kind:     hidden_grid_dims
    .group_segment_fixed_size: 0
    .kernarg_segment_align: 8
    .kernarg_segment_size: 304
    .language:       OpenCL C
    .language_version:
      - 2
      - 0
    .max_flat_workgroup_size: 256
    .name:           _ZL40rocblas_copy_triangular_syrk_herk_kernelILb1ELb1ELb1E19rocblas_complex_numIfEPS1_Li16ELi16EEviT3_ilPT2_i
    .private_segment_fixed_size: 0
    .sgpr_count:     20
    .sgpr_spill_count: 0
    .symbol:         _ZL40rocblas_copy_triangular_syrk_herk_kernelILb1ELb1ELb1E19rocblas_complex_numIfEPS1_Li16ELi16EEviT3_ilPT2_i.kd
    .uniform_work_group_size: 1
    .uses_dynamic_stack: false
    .vgpr_count:     7
    .vgpr_spill_count: 0
    .wavefront_size: 64
  - .args:
      - .offset:         0
        .size:           4
        .value_kind:     by_value
      - .address_space:  global
        .offset:         8
        .size:           8
        .value_kind:     global_buffer
      - .offset:         16
        .size:           4
        .value_kind:     by_value
      - .offset:         24
        .size:           8
        .value_kind:     by_value
      - .address_space:  global
        .offset:         32
        .size:           8
        .value_kind:     global_buffer
      - .offset:         40
        .size:           4
        .value_kind:     by_value
      - .offset:         48
        .size:           4
        .value_kind:     hidden_block_count_x
      - .offset:         52
        .size:           4
        .value_kind:     hidden_block_count_y
      - .offset:         56
        .size:           4
        .value_kind:     hidden_block_count_z
      - .offset:         60
        .size:           2
        .value_kind:     hidden_group_size_x
      - .offset:         62
        .size:           2
        .value_kind:     hidden_group_size_y
      - .offset:         64
        .size:           2
        .value_kind:     hidden_group_size_z
      - .offset:         66
        .size:           2
        .value_kind:     hidden_remainder_x
      - .offset:         68
        .size:           2
        .value_kind:     hidden_remainder_y
      - .offset:         70
        .size:           2
        .value_kind:     hidden_remainder_z
      - .offset:         88
        .size:           8
        .value_kind:     hidden_global_offset_x
      - .offset:         96
        .size:           8
        .value_kind:     hidden_global_offset_y
      - .offset:         104
        .size:           8
        .value_kind:     hidden_global_offset_z
      - .offset:         112
        .size:           2
        .value_kind:     hidden_grid_dims
    .group_segment_fixed_size: 0
    .kernarg_segment_align: 8
    .kernarg_segment_size: 304
    .language:       OpenCL C
    .language_version:
      - 2
      - 0
    .max_flat_workgroup_size: 256
    .name:           _ZL40rocblas_copy_triangular_syrk_herk_kernelILb1ELb0ELb1E19rocblas_complex_numIfEPS1_Li16ELi16EEviT3_ilPT2_i
    .private_segment_fixed_size: 0
    .sgpr_count:     20
    .sgpr_spill_count: 0
    .symbol:         _ZL40rocblas_copy_triangular_syrk_herk_kernelILb1ELb0ELb1E19rocblas_complex_numIfEPS1_Li16ELi16EEviT3_ilPT2_i.kd
    .uniform_work_group_size: 1
    .uses_dynamic_stack: false
    .vgpr_count:     7
    .vgpr_spill_count: 0
    .wavefront_size: 64
  - .args:
      - .offset:         0
        .size:           4
        .value_kind:     by_value
      - .address_space:  global
        .offset:         8
        .size:           8
        .value_kind:     global_buffer
      - .offset:         16
        .size:           4
        .value_kind:     by_value
      - .offset:         24
        .size:           8
        .value_kind:     by_value
      - .address_space:  global
        .offset:         32
        .size:           8
        .value_kind:     global_buffer
      - .offset:         40
        .size:           4
        .value_kind:     by_value
      - .offset:         48
        .size:           4
        .value_kind:     hidden_block_count_x
      - .offset:         52
        .size:           4
        .value_kind:     hidden_block_count_y
      - .offset:         56
        .size:           4
        .value_kind:     hidden_block_count_z
      - .offset:         60
        .size:           2
        .value_kind:     hidden_group_size_x
      - .offset:         62
        .size:           2
        .value_kind:     hidden_group_size_y
      - .offset:         64
        .size:           2
        .value_kind:     hidden_group_size_z
      - .offset:         66
        .size:           2
        .value_kind:     hidden_remainder_x
      - .offset:         68
        .size:           2
        .value_kind:     hidden_remainder_y
      - .offset:         70
        .size:           2
        .value_kind:     hidden_remainder_z
      - .offset:         88
        .size:           8
        .value_kind:     hidden_global_offset_x
      - .offset:         96
        .size:           8
        .value_kind:     hidden_global_offset_y
      - .offset:         104
        .size:           8
        .value_kind:     hidden_global_offset_z
      - .offset:         112
        .size:           2
        .value_kind:     hidden_grid_dims
    .group_segment_fixed_size: 0
    .kernarg_segment_align: 8
    .kernarg_segment_size: 304
    .language:       OpenCL C
    .language_version:
      - 2
      - 0
    .max_flat_workgroup_size: 256
    .name:           _ZL40rocblas_copy_triangular_syrk_herk_kernelILb0ELb1ELb1E19rocblas_complex_numIfEPS1_Li16ELi16EEviT3_ilPT2_i
    .private_segment_fixed_size: 0
    .sgpr_count:     20
    .sgpr_spill_count: 0
    .symbol:         _ZL40rocblas_copy_triangular_syrk_herk_kernelILb0ELb1ELb1E19rocblas_complex_numIfEPS1_Li16ELi16EEviT3_ilPT2_i.kd
    .uniform_work_group_size: 1
    .uses_dynamic_stack: false
    .vgpr_count:     9
    .vgpr_spill_count: 0
    .wavefront_size: 64
  - .args:
      - .offset:         0
        .size:           4
        .value_kind:     by_value
      - .address_space:  global
        .offset:         8
        .size:           8
        .value_kind:     global_buffer
      - .offset:         16
        .size:           4
        .value_kind:     by_value
      - .offset:         24
        .size:           8
        .value_kind:     by_value
      - .address_space:  global
        .offset:         32
        .size:           8
        .value_kind:     global_buffer
      - .offset:         40
        .size:           4
        .value_kind:     by_value
      - .offset:         48
        .size:           4
        .value_kind:     hidden_block_count_x
      - .offset:         52
        .size:           4
        .value_kind:     hidden_block_count_y
      - .offset:         56
        .size:           4
        .value_kind:     hidden_block_count_z
      - .offset:         60
        .size:           2
        .value_kind:     hidden_group_size_x
      - .offset:         62
        .size:           2
        .value_kind:     hidden_group_size_y
      - .offset:         64
        .size:           2
        .value_kind:     hidden_group_size_z
      - .offset:         66
        .size:           2
        .value_kind:     hidden_remainder_x
      - .offset:         68
        .size:           2
        .value_kind:     hidden_remainder_y
      - .offset:         70
        .size:           2
        .value_kind:     hidden_remainder_z
      - .offset:         88
        .size:           8
        .value_kind:     hidden_global_offset_x
      - .offset:         96
        .size:           8
        .value_kind:     hidden_global_offset_y
      - .offset:         104
        .size:           8
        .value_kind:     hidden_global_offset_z
      - .offset:         112
        .size:           2
        .value_kind:     hidden_grid_dims
    .group_segment_fixed_size: 0
    .kernarg_segment_align: 8
    .kernarg_segment_size: 304
    .language:       OpenCL C
    .language_version:
      - 2
      - 0
    .max_flat_workgroup_size: 256
    .name:           _ZL40rocblas_copy_triangular_syrk_herk_kernelILb0ELb0ELb1E19rocblas_complex_numIfEPS1_Li16ELi16EEviT3_ilPT2_i
    .private_segment_fixed_size: 0
    .sgpr_count:     18
    .sgpr_spill_count: 0
    .symbol:         _ZL40rocblas_copy_triangular_syrk_herk_kernelILb0ELb0ELb1E19rocblas_complex_numIfEPS1_Li16ELi16EEviT3_ilPT2_i.kd
    .uniform_work_group_size: 1
    .uses_dynamic_stack: false
    .vgpr_count:     9
    .vgpr_spill_count: 0
    .wavefront_size: 64
  - .args:
      - .offset:         0
        .size:           4
        .value_kind:     by_value
      - .address_space:  global
        .offset:         8
        .size:           8
        .value_kind:     global_buffer
      - .offset:         16
        .size:           4
        .value_kind:     by_value
      - .offset:         24
        .size:           8
        .value_kind:     by_value
      - .address_space:  global
        .offset:         32
        .size:           8
        .value_kind:     global_buffer
      - .offset:         40
        .size:           4
        .value_kind:     by_value
      - .offset:         48
        .size:           4
        .value_kind:     hidden_block_count_x
      - .offset:         52
        .size:           4
        .value_kind:     hidden_block_count_y
      - .offset:         56
        .size:           4
        .value_kind:     hidden_block_count_z
      - .offset:         60
        .size:           2
        .value_kind:     hidden_group_size_x
      - .offset:         62
        .size:           2
        .value_kind:     hidden_group_size_y
      - .offset:         64
        .size:           2
        .value_kind:     hidden_group_size_z
      - .offset:         66
        .size:           2
        .value_kind:     hidden_remainder_x
      - .offset:         68
        .size:           2
        .value_kind:     hidden_remainder_y
      - .offset:         70
        .size:           2
        .value_kind:     hidden_remainder_z
      - .offset:         88
        .size:           8
        .value_kind:     hidden_global_offset_x
      - .offset:         96
        .size:           8
        .value_kind:     hidden_global_offset_y
      - .offset:         104
        .size:           8
        .value_kind:     hidden_global_offset_z
      - .offset:         112
        .size:           2
        .value_kind:     hidden_grid_dims
    .group_segment_fixed_size: 0
    .kernarg_segment_align: 8
    .kernarg_segment_size: 304
    .language:       OpenCL C
    .language_version:
      - 2
      - 0
    .max_flat_workgroup_size: 256
    .name:           _ZL40rocblas_copy_triangular_syrk_herk_kernelILb1ELb1ELb1E19rocblas_complex_numIdEPS1_Li16ELi16EEviT3_ilPT2_i
    .private_segment_fixed_size: 0
    .sgpr_count:     20
    .sgpr_spill_count: 0
    .symbol:         _ZL40rocblas_copy_triangular_syrk_herk_kernelILb1ELb1ELb1E19rocblas_complex_numIdEPS1_Li16ELi16EEviT3_ilPT2_i.kd
    .uniform_work_group_size: 1
    .uses_dynamic_stack: false
    .vgpr_count:     7
    .vgpr_spill_count: 0
    .wavefront_size: 64
  - .args:
      - .offset:         0
        .size:           4
        .value_kind:     by_value
      - .address_space:  global
        .offset:         8
        .size:           8
        .value_kind:     global_buffer
      - .offset:         16
        .size:           4
        .value_kind:     by_value
      - .offset:         24
        .size:           8
        .value_kind:     by_value
      - .address_space:  global
        .offset:         32
        .size:           8
        .value_kind:     global_buffer
      - .offset:         40
        .size:           4
        .value_kind:     by_value
      - .offset:         48
        .size:           4
        .value_kind:     hidden_block_count_x
      - .offset:         52
        .size:           4
        .value_kind:     hidden_block_count_y
      - .offset:         56
        .size:           4
        .value_kind:     hidden_block_count_z
      - .offset:         60
        .size:           2
        .value_kind:     hidden_group_size_x
      - .offset:         62
        .size:           2
        .value_kind:     hidden_group_size_y
      - .offset:         64
        .size:           2
        .value_kind:     hidden_group_size_z
      - .offset:         66
        .size:           2
        .value_kind:     hidden_remainder_x
      - .offset:         68
        .size:           2
        .value_kind:     hidden_remainder_y
      - .offset:         70
        .size:           2
        .value_kind:     hidden_remainder_z
      - .offset:         88
        .size:           8
        .value_kind:     hidden_global_offset_x
      - .offset:         96
        .size:           8
        .value_kind:     hidden_global_offset_y
      - .offset:         104
        .size:           8
        .value_kind:     hidden_global_offset_z
      - .offset:         112
        .size:           2
        .value_kind:     hidden_grid_dims
    .group_segment_fixed_size: 0
    .kernarg_segment_align: 8
    .kernarg_segment_size: 304
    .language:       OpenCL C
    .language_version:
      - 2
      - 0
    .max_flat_workgroup_size: 256
    .name:           _ZL40rocblas_copy_triangular_syrk_herk_kernelILb1ELb0ELb1E19rocblas_complex_numIdEPS1_Li16ELi16EEviT3_ilPT2_i
    .private_segment_fixed_size: 0
    .sgpr_count:     20
    .sgpr_spill_count: 0
    .symbol:         _ZL40rocblas_copy_triangular_syrk_herk_kernelILb1ELb0ELb1E19rocblas_complex_numIdEPS1_Li16ELi16EEviT3_ilPT2_i.kd
    .uniform_work_group_size: 1
    .uses_dynamic_stack: false
    .vgpr_count:     8
    .vgpr_spill_count: 0
    .wavefront_size: 64
  - .args:
      - .offset:         0
        .size:           4
        .value_kind:     by_value
      - .address_space:  global
        .offset:         8
        .size:           8
        .value_kind:     global_buffer
      - .offset:         16
        .size:           4
        .value_kind:     by_value
      - .offset:         24
        .size:           8
        .value_kind:     by_value
      - .address_space:  global
        .offset:         32
        .size:           8
        .value_kind:     global_buffer
      - .offset:         40
        .size:           4
        .value_kind:     by_value
      - .offset:         48
        .size:           4
        .value_kind:     hidden_block_count_x
      - .offset:         52
        .size:           4
        .value_kind:     hidden_block_count_y
      - .offset:         56
        .size:           4
        .value_kind:     hidden_block_count_z
      - .offset:         60
        .size:           2
        .value_kind:     hidden_group_size_x
      - .offset:         62
        .size:           2
        .value_kind:     hidden_group_size_y
      - .offset:         64
        .size:           2
        .value_kind:     hidden_group_size_z
      - .offset:         66
        .size:           2
        .value_kind:     hidden_remainder_x
      - .offset:         68
        .size:           2
        .value_kind:     hidden_remainder_y
      - .offset:         70
        .size:           2
        .value_kind:     hidden_remainder_z
      - .offset:         88
        .size:           8
        .value_kind:     hidden_global_offset_x
      - .offset:         96
        .size:           8
        .value_kind:     hidden_global_offset_y
      - .offset:         104
        .size:           8
        .value_kind:     hidden_global_offset_z
      - .offset:         112
        .size:           2
        .value_kind:     hidden_grid_dims
    .group_segment_fixed_size: 0
    .kernarg_segment_align: 8
    .kernarg_segment_size: 304
    .language:       OpenCL C
    .language_version:
      - 2
      - 0
    .max_flat_workgroup_size: 256
    .name:           _ZL40rocblas_copy_triangular_syrk_herk_kernelILb0ELb1ELb1E19rocblas_complex_numIdEPS1_Li16ELi16EEviT3_ilPT2_i
    .private_segment_fixed_size: 0
    .sgpr_count:     20
    .sgpr_spill_count: 0
    .symbol:         _ZL40rocblas_copy_triangular_syrk_herk_kernelILb0ELb1ELb1E19rocblas_complex_numIdEPS1_Li16ELi16EEviT3_ilPT2_i.kd
    .uniform_work_group_size: 1
    .uses_dynamic_stack: false
    .vgpr_count:     11
    .vgpr_spill_count: 0
    .wavefront_size: 64
  - .args:
      - .offset:         0
        .size:           4
        .value_kind:     by_value
      - .address_space:  global
        .offset:         8
        .size:           8
        .value_kind:     global_buffer
      - .offset:         16
        .size:           4
        .value_kind:     by_value
      - .offset:         24
        .size:           8
        .value_kind:     by_value
      - .address_space:  global
        .offset:         32
        .size:           8
        .value_kind:     global_buffer
      - .offset:         40
        .size:           4
        .value_kind:     by_value
      - .offset:         48
        .size:           4
        .value_kind:     hidden_block_count_x
      - .offset:         52
        .size:           4
        .value_kind:     hidden_block_count_y
      - .offset:         56
        .size:           4
        .value_kind:     hidden_block_count_z
      - .offset:         60
        .size:           2
        .value_kind:     hidden_group_size_x
      - .offset:         62
        .size:           2
        .value_kind:     hidden_group_size_y
      - .offset:         64
        .size:           2
        .value_kind:     hidden_group_size_z
      - .offset:         66
        .size:           2
        .value_kind:     hidden_remainder_x
      - .offset:         68
        .size:           2
        .value_kind:     hidden_remainder_y
      - .offset:         70
        .size:           2
        .value_kind:     hidden_remainder_z
      - .offset:         88
        .size:           8
        .value_kind:     hidden_global_offset_x
      - .offset:         96
        .size:           8
        .value_kind:     hidden_global_offset_y
      - .offset:         104
        .size:           8
        .value_kind:     hidden_global_offset_z
      - .offset:         112
        .size:           2
        .value_kind:     hidden_grid_dims
    .group_segment_fixed_size: 0
    .kernarg_segment_align: 8
    .kernarg_segment_size: 304
    .language:       OpenCL C
    .language_version:
      - 2
      - 0
    .max_flat_workgroup_size: 256
    .name:           _ZL40rocblas_copy_triangular_syrk_herk_kernelILb0ELb0ELb1E19rocblas_complex_numIdEPS1_Li16ELi16EEviT3_ilPT2_i
    .private_segment_fixed_size: 0
    .sgpr_count:     18
    .sgpr_spill_count: 0
    .symbol:         _ZL40rocblas_copy_triangular_syrk_herk_kernelILb0ELb0ELb1E19rocblas_complex_numIdEPS1_Li16ELi16EEviT3_ilPT2_i.kd
    .uniform_work_group_size: 1
    .uses_dynamic_stack: false
    .vgpr_count:     11
    .vgpr_spill_count: 0
    .wavefront_size: 64
  - .args:
      - .offset:         0
        .size:           4
        .value_kind:     by_value
      - .address_space:  global
        .offset:         8
        .size:           8
        .value_kind:     global_buffer
      - .offset:         16
        .size:           4
        .value_kind:     by_value
      - .offset:         24
        .size:           8
        .value_kind:     by_value
      - .address_space:  global
        .offset:         32
        .size:           8
        .value_kind:     global_buffer
      - .offset:         40
        .size:           4
        .value_kind:     by_value
      - .offset:         48
        .size:           4
        .value_kind:     hidden_block_count_x
      - .offset:         52
        .size:           4
        .value_kind:     hidden_block_count_y
      - .offset:         56
        .size:           4
        .value_kind:     hidden_block_count_z
      - .offset:         60
        .size:           2
        .value_kind:     hidden_group_size_x
      - .offset:         62
        .size:           2
        .value_kind:     hidden_group_size_y
      - .offset:         64
        .size:           2
        .value_kind:     hidden_group_size_z
      - .offset:         66
        .size:           2
        .value_kind:     hidden_remainder_x
      - .offset:         68
        .size:           2
        .value_kind:     hidden_remainder_y
      - .offset:         70
        .size:           2
        .value_kind:     hidden_remainder_z
      - .offset:         88
        .size:           8
        .value_kind:     hidden_global_offset_x
      - .offset:         96
        .size:           8
        .value_kind:     hidden_global_offset_y
      - .offset:         104
        .size:           8
        .value_kind:     hidden_global_offset_z
      - .offset:         112
        .size:           2
        .value_kind:     hidden_grid_dims
    .group_segment_fixed_size: 0
    .kernarg_segment_align: 8
    .kernarg_segment_size: 304
    .language:       OpenCL C
    .language_version:
      - 2
      - 0
    .max_flat_workgroup_size: 256
    .name:           _ZL40rocblas_copy_triangular_syrk_herk_kernelILb1ELb1ELb1E19rocblas_complex_numIfEPKPS1_Li16ELi16EEviT3_ilPT2_i
    .private_segment_fixed_size: 0
    .sgpr_count:     15
    .sgpr_spill_count: 0
    .symbol:         _ZL40rocblas_copy_triangular_syrk_herk_kernelILb1ELb1ELb1E19rocblas_complex_numIfEPKPS1_Li16ELi16EEviT3_ilPT2_i.kd
    .uniform_work_group_size: 1
    .uses_dynamic_stack: false
    .vgpr_count:     7
    .vgpr_spill_count: 0
    .wavefront_size: 64
  - .args:
      - .offset:         0
        .size:           4
        .value_kind:     by_value
      - .address_space:  global
        .offset:         8
        .size:           8
        .value_kind:     global_buffer
      - .offset:         16
        .size:           4
        .value_kind:     by_value
      - .offset:         24
        .size:           8
        .value_kind:     by_value
      - .address_space:  global
        .offset:         32
        .size:           8
        .value_kind:     global_buffer
      - .offset:         40
        .size:           4
        .value_kind:     by_value
      - .offset:         48
        .size:           4
        .value_kind:     hidden_block_count_x
      - .offset:         52
        .size:           4
        .value_kind:     hidden_block_count_y
      - .offset:         56
        .size:           4
        .value_kind:     hidden_block_count_z
      - .offset:         60
        .size:           2
        .value_kind:     hidden_group_size_x
      - .offset:         62
        .size:           2
        .value_kind:     hidden_group_size_y
      - .offset:         64
        .size:           2
        .value_kind:     hidden_group_size_z
      - .offset:         66
        .size:           2
        .value_kind:     hidden_remainder_x
      - .offset:         68
        .size:           2
        .value_kind:     hidden_remainder_y
      - .offset:         70
        .size:           2
        .value_kind:     hidden_remainder_z
      - .offset:         88
        .size:           8
        .value_kind:     hidden_global_offset_x
      - .offset:         96
        .size:           8
        .value_kind:     hidden_global_offset_y
      - .offset:         104
        .size:           8
        .value_kind:     hidden_global_offset_z
      - .offset:         112
        .size:           2
        .value_kind:     hidden_grid_dims
    .group_segment_fixed_size: 0
    .kernarg_segment_align: 8
    .kernarg_segment_size: 304
    .language:       OpenCL C
    .language_version:
      - 2
      - 0
    .max_flat_workgroup_size: 256
    .name:           _ZL40rocblas_copy_triangular_syrk_herk_kernelILb1ELb0ELb1E19rocblas_complex_numIfEPKPS1_Li16ELi16EEviT3_ilPT2_i
    .private_segment_fixed_size: 0
    .sgpr_count:     15
    .sgpr_spill_count: 0
    .symbol:         _ZL40rocblas_copy_triangular_syrk_herk_kernelILb1ELb0ELb1E19rocblas_complex_numIfEPKPS1_Li16ELi16EEviT3_ilPT2_i.kd
    .uniform_work_group_size: 1
    .uses_dynamic_stack: false
    .vgpr_count:     7
    .vgpr_spill_count: 0
    .wavefront_size: 64
  - .args:
      - .offset:         0
        .size:           4
        .value_kind:     by_value
      - .address_space:  global
        .offset:         8
        .size:           8
        .value_kind:     global_buffer
      - .offset:         16
        .size:           4
        .value_kind:     by_value
      - .offset:         24
        .size:           8
        .value_kind:     by_value
      - .address_space:  global
        .offset:         32
        .size:           8
        .value_kind:     global_buffer
      - .offset:         40
        .size:           4
        .value_kind:     by_value
      - .offset:         48
        .size:           4
        .value_kind:     hidden_block_count_x
      - .offset:         52
        .size:           4
        .value_kind:     hidden_block_count_y
      - .offset:         56
        .size:           4
        .value_kind:     hidden_block_count_z
      - .offset:         60
        .size:           2
        .value_kind:     hidden_group_size_x
      - .offset:         62
        .size:           2
        .value_kind:     hidden_group_size_y
      - .offset:         64
        .size:           2
        .value_kind:     hidden_group_size_z
      - .offset:         66
        .size:           2
        .value_kind:     hidden_remainder_x
      - .offset:         68
        .size:           2
        .value_kind:     hidden_remainder_y
      - .offset:         70
        .size:           2
        .value_kind:     hidden_remainder_z
      - .offset:         88
        .size:           8
        .value_kind:     hidden_global_offset_x
      - .offset:         96
        .size:           8
        .value_kind:     hidden_global_offset_y
      - .offset:         104
        .size:           8
        .value_kind:     hidden_global_offset_z
      - .offset:         112
        .size:           2
        .value_kind:     hidden_grid_dims
    .group_segment_fixed_size: 0
    .kernarg_segment_align: 8
    .kernarg_segment_size: 304
    .language:       OpenCL C
    .language_version:
      - 2
      - 0
    .max_flat_workgroup_size: 256
    .name:           _ZL40rocblas_copy_triangular_syrk_herk_kernelILb0ELb1ELb1E19rocblas_complex_numIfEPKPS1_Li16ELi16EEviT3_ilPT2_i
    .private_segment_fixed_size: 0
    .sgpr_count:     19
    .sgpr_spill_count: 0
    .symbol:         _ZL40rocblas_copy_triangular_syrk_herk_kernelILb0ELb1ELb1E19rocblas_complex_numIfEPKPS1_Li16ELi16EEviT3_ilPT2_i.kd
    .uniform_work_group_size: 1
    .uses_dynamic_stack: false
    .vgpr_count:     9
    .vgpr_spill_count: 0
    .wavefront_size: 64
  - .args:
      - .offset:         0
        .size:           4
        .value_kind:     by_value
      - .address_space:  global
        .offset:         8
        .size:           8
        .value_kind:     global_buffer
      - .offset:         16
        .size:           4
        .value_kind:     by_value
      - .offset:         24
        .size:           8
        .value_kind:     by_value
      - .address_space:  global
        .offset:         32
        .size:           8
        .value_kind:     global_buffer
      - .offset:         40
        .size:           4
        .value_kind:     by_value
      - .offset:         48
        .size:           4
        .value_kind:     hidden_block_count_x
      - .offset:         52
        .size:           4
        .value_kind:     hidden_block_count_y
      - .offset:         56
        .size:           4
        .value_kind:     hidden_block_count_z
      - .offset:         60
        .size:           2
        .value_kind:     hidden_group_size_x
      - .offset:         62
        .size:           2
        .value_kind:     hidden_group_size_y
      - .offset:         64
        .size:           2
        .value_kind:     hidden_group_size_z
      - .offset:         66
        .size:           2
        .value_kind:     hidden_remainder_x
      - .offset:         68
        .size:           2
        .value_kind:     hidden_remainder_y
      - .offset:         70
        .size:           2
        .value_kind:     hidden_remainder_z
      - .offset:         88
        .size:           8
        .value_kind:     hidden_global_offset_x
      - .offset:         96
        .size:           8
        .value_kind:     hidden_global_offset_y
      - .offset:         104
        .size:           8
        .value_kind:     hidden_global_offset_z
      - .offset:         112
        .size:           2
        .value_kind:     hidden_grid_dims
    .group_segment_fixed_size: 0
    .kernarg_segment_align: 8
    .kernarg_segment_size: 304
    .language:       OpenCL C
    .language_version:
      - 2
      - 0
    .max_flat_workgroup_size: 256
    .name:           _ZL40rocblas_copy_triangular_syrk_herk_kernelILb0ELb0ELb1E19rocblas_complex_numIfEPKPS1_Li16ELi16EEviT3_ilPT2_i
    .private_segment_fixed_size: 0
    .sgpr_count:     17
    .sgpr_spill_count: 0
    .symbol:         _ZL40rocblas_copy_triangular_syrk_herk_kernelILb0ELb0ELb1E19rocblas_complex_numIfEPKPS1_Li16ELi16EEviT3_ilPT2_i.kd
    .uniform_work_group_size: 1
    .uses_dynamic_stack: false
    .vgpr_count:     9
    .vgpr_spill_count: 0
    .wavefront_size: 64
  - .args:
      - .offset:         0
        .size:           4
        .value_kind:     by_value
      - .address_space:  global
        .offset:         8
        .size:           8
        .value_kind:     global_buffer
      - .offset:         16
        .size:           4
        .value_kind:     by_value
      - .offset:         24
        .size:           8
        .value_kind:     by_value
      - .address_space:  global
        .offset:         32
        .size:           8
        .value_kind:     global_buffer
      - .offset:         40
        .size:           4
        .value_kind:     by_value
      - .offset:         48
        .size:           4
        .value_kind:     hidden_block_count_x
      - .offset:         52
        .size:           4
        .value_kind:     hidden_block_count_y
      - .offset:         56
        .size:           4
        .value_kind:     hidden_block_count_z
      - .offset:         60
        .size:           2
        .value_kind:     hidden_group_size_x
      - .offset:         62
        .size:           2
        .value_kind:     hidden_group_size_y
      - .offset:         64
        .size:           2
        .value_kind:     hidden_group_size_z
      - .offset:         66
        .size:           2
        .value_kind:     hidden_remainder_x
      - .offset:         68
        .size:           2
        .value_kind:     hidden_remainder_y
      - .offset:         70
        .size:           2
        .value_kind:     hidden_remainder_z
      - .offset:         88
        .size:           8
        .value_kind:     hidden_global_offset_x
      - .offset:         96
        .size:           8
        .value_kind:     hidden_global_offset_y
      - .offset:         104
        .size:           8
        .value_kind:     hidden_global_offset_z
      - .offset:         112
        .size:           2
        .value_kind:     hidden_grid_dims
    .group_segment_fixed_size: 0
    .kernarg_segment_align: 8
    .kernarg_segment_size: 304
    .language:       OpenCL C
    .language_version:
      - 2
      - 0
    .max_flat_workgroup_size: 256
    .name:           _ZL40rocblas_copy_triangular_syrk_herk_kernelILb1ELb1ELb1E19rocblas_complex_numIdEPKPS1_Li16ELi16EEviT3_ilPT2_i
    .private_segment_fixed_size: 0
    .sgpr_count:     15
    .sgpr_spill_count: 0
    .symbol:         _ZL40rocblas_copy_triangular_syrk_herk_kernelILb1ELb1ELb1E19rocblas_complex_numIdEPKPS1_Li16ELi16EEviT3_ilPT2_i.kd
    .uniform_work_group_size: 1
    .uses_dynamic_stack: false
    .vgpr_count:     7
    .vgpr_spill_count: 0
    .wavefront_size: 64
  - .args:
      - .offset:         0
        .size:           4
        .value_kind:     by_value
      - .address_space:  global
        .offset:         8
        .size:           8
        .value_kind:     global_buffer
      - .offset:         16
        .size:           4
        .value_kind:     by_value
      - .offset:         24
        .size:           8
        .value_kind:     by_value
      - .address_space:  global
        .offset:         32
        .size:           8
        .value_kind:     global_buffer
      - .offset:         40
        .size:           4
        .value_kind:     by_value
      - .offset:         48
        .size:           4
        .value_kind:     hidden_block_count_x
      - .offset:         52
        .size:           4
        .value_kind:     hidden_block_count_y
      - .offset:         56
        .size:           4
        .value_kind:     hidden_block_count_z
      - .offset:         60
        .size:           2
        .value_kind:     hidden_group_size_x
      - .offset:         62
        .size:           2
        .value_kind:     hidden_group_size_y
      - .offset:         64
        .size:           2
        .value_kind:     hidden_group_size_z
      - .offset:         66
        .size:           2
        .value_kind:     hidden_remainder_x
      - .offset:         68
        .size:           2
        .value_kind:     hidden_remainder_y
      - .offset:         70
        .size:           2
        .value_kind:     hidden_remainder_z
      - .offset:         88
        .size:           8
        .value_kind:     hidden_global_offset_x
      - .offset:         96
        .size:           8
        .value_kind:     hidden_global_offset_y
      - .offset:         104
        .size:           8
        .value_kind:     hidden_global_offset_z
      - .offset:         112
        .size:           2
        .value_kind:     hidden_grid_dims
    .group_segment_fixed_size: 0
    .kernarg_segment_align: 8
    .kernarg_segment_size: 304
    .language:       OpenCL C
    .language_version:
      - 2
      - 0
    .max_flat_workgroup_size: 256
    .name:           _ZL40rocblas_copy_triangular_syrk_herk_kernelILb1ELb0ELb1E19rocblas_complex_numIdEPKPS1_Li16ELi16EEviT3_ilPT2_i
    .private_segment_fixed_size: 0
    .sgpr_count:     15
    .sgpr_spill_count: 0
    .symbol:         _ZL40rocblas_copy_triangular_syrk_herk_kernelILb1ELb0ELb1E19rocblas_complex_numIdEPKPS1_Li16ELi16EEviT3_ilPT2_i.kd
    .uniform_work_group_size: 1
    .uses_dynamic_stack: false
    .vgpr_count:     8
    .vgpr_spill_count: 0
    .wavefront_size: 64
  - .args:
      - .offset:         0
        .size:           4
        .value_kind:     by_value
      - .address_space:  global
        .offset:         8
        .size:           8
        .value_kind:     global_buffer
      - .offset:         16
        .size:           4
        .value_kind:     by_value
      - .offset:         24
        .size:           8
        .value_kind:     by_value
      - .address_space:  global
        .offset:         32
        .size:           8
        .value_kind:     global_buffer
      - .offset:         40
        .size:           4
        .value_kind:     by_value
      - .offset:         48
        .size:           4
        .value_kind:     hidden_block_count_x
      - .offset:         52
        .size:           4
        .value_kind:     hidden_block_count_y
      - .offset:         56
        .size:           4
        .value_kind:     hidden_block_count_z
      - .offset:         60
        .size:           2
        .value_kind:     hidden_group_size_x
      - .offset:         62
        .size:           2
        .value_kind:     hidden_group_size_y
      - .offset:         64
        .size:           2
        .value_kind:     hidden_group_size_z
      - .offset:         66
        .size:           2
        .value_kind:     hidden_remainder_x
      - .offset:         68
        .size:           2
        .value_kind:     hidden_remainder_y
      - .offset:         70
        .size:           2
        .value_kind:     hidden_remainder_z
      - .offset:         88
        .size:           8
        .value_kind:     hidden_global_offset_x
      - .offset:         96
        .size:           8
        .value_kind:     hidden_global_offset_y
      - .offset:         104
        .size:           8
        .value_kind:     hidden_global_offset_z
      - .offset:         112
        .size:           2
        .value_kind:     hidden_grid_dims
    .group_segment_fixed_size: 0
    .kernarg_segment_align: 8
    .kernarg_segment_size: 304
    .language:       OpenCL C
    .language_version:
      - 2
      - 0
    .max_flat_workgroup_size: 256
    .name:           _ZL40rocblas_copy_triangular_syrk_herk_kernelILb0ELb1ELb1E19rocblas_complex_numIdEPKPS1_Li16ELi16EEviT3_ilPT2_i
    .private_segment_fixed_size: 0
    .sgpr_count:     19
    .sgpr_spill_count: 0
    .symbol:         _ZL40rocblas_copy_triangular_syrk_herk_kernelILb0ELb1ELb1E19rocblas_complex_numIdEPKPS1_Li16ELi16EEviT3_ilPT2_i.kd
    .uniform_work_group_size: 1
    .uses_dynamic_stack: false
    .vgpr_count:     11
    .vgpr_spill_count: 0
    .wavefront_size: 64
  - .args:
      - .offset:         0
        .size:           4
        .value_kind:     by_value
      - .address_space:  global
        .offset:         8
        .size:           8
        .value_kind:     global_buffer
      - .offset:         16
        .size:           4
        .value_kind:     by_value
      - .offset:         24
        .size:           8
        .value_kind:     by_value
      - .address_space:  global
        .offset:         32
        .size:           8
        .value_kind:     global_buffer
      - .offset:         40
        .size:           4
        .value_kind:     by_value
      - .offset:         48
        .size:           4
        .value_kind:     hidden_block_count_x
      - .offset:         52
        .size:           4
        .value_kind:     hidden_block_count_y
      - .offset:         56
        .size:           4
        .value_kind:     hidden_block_count_z
      - .offset:         60
        .size:           2
        .value_kind:     hidden_group_size_x
      - .offset:         62
        .size:           2
        .value_kind:     hidden_group_size_y
      - .offset:         64
        .size:           2
        .value_kind:     hidden_group_size_z
      - .offset:         66
        .size:           2
        .value_kind:     hidden_remainder_x
      - .offset:         68
        .size:           2
        .value_kind:     hidden_remainder_y
      - .offset:         70
        .size:           2
        .value_kind:     hidden_remainder_z
      - .offset:         88
        .size:           8
        .value_kind:     hidden_global_offset_x
      - .offset:         96
        .size:           8
        .value_kind:     hidden_global_offset_y
      - .offset:         104
        .size:           8
        .value_kind:     hidden_global_offset_z
      - .offset:         112
        .size:           2
        .value_kind:     hidden_grid_dims
    .group_segment_fixed_size: 0
    .kernarg_segment_align: 8
    .kernarg_segment_size: 304
    .language:       OpenCL C
    .language_version:
      - 2
      - 0
    .max_flat_workgroup_size: 256
    .name:           _ZL40rocblas_copy_triangular_syrk_herk_kernelILb0ELb0ELb1E19rocblas_complex_numIdEPKPS1_Li16ELi16EEviT3_ilPT2_i
    .private_segment_fixed_size: 0
    .sgpr_count:     17
    .sgpr_spill_count: 0
    .symbol:         _ZL40rocblas_copy_triangular_syrk_herk_kernelILb0ELb0ELb1E19rocblas_complex_numIdEPKPS1_Li16ELi16EEviT3_ilPT2_i.kd
    .uniform_work_group_size: 1
    .uses_dynamic_stack: false
    .vgpr_count:     11
    .vgpr_spill_count: 0
    .wavefront_size: 64
amdhsa.target:   amdgcn-amd-amdhsa--gfx906
amdhsa.version:
  - 1
  - 2
...

	.end_amdgpu_metadata
